;; amdgpu-corpus repo=ROCm/rocFFT kind=compiled arch=gfx1201 opt=O3
	.text
	.amdgcn_target "amdgcn-amd-amdhsa--gfx1201"
	.amdhsa_code_object_version 6
	.protected	bluestein_single_fwd_len2048_dim1_sp_op_CI_CI ; -- Begin function bluestein_single_fwd_len2048_dim1_sp_op_CI_CI
	.globl	bluestein_single_fwd_len2048_dim1_sp_op_CI_CI
	.p2align	8
	.type	bluestein_single_fwd_len2048_dim1_sp_op_CI_CI,@function
bluestein_single_fwd_len2048_dim1_sp_op_CI_CI: ; @bluestein_single_fwd_len2048_dim1_sp_op_CI_CI
; %bb.0:
	s_load_b128 s[8:11], s[0:1], 0x28
	s_mov_b32 s2, ttmp9
	s_mov_b32 s3, 0
	s_mov_b32 s5, exec_lo
	s_wait_kmcnt 0x0
	v_cmpx_lt_u64_e64 s[2:3], s[8:9]
	s_cbranch_execz .LBB0_23
; %bb.1:
	s_clause 0x1
	s_load_b64 s[12:13], s[0:1], 0x0
	s_load_b64 s[8:9], s[0:1], 0x38
	v_dual_mov_b32 v74, s3 :: v_dual_mov_b32 v73, s2
	v_cmp_gt_u32_e32 vcc_lo, 0x80, v0
	v_lshlrev_b32_e32 v86, 3, v0
	v_or_b32_e32 v78, 0x80, v0
	v_or_b32_e32 v79, 0x180, v0
	;; [unrolled: 1-line block ×8, first 2 shown]
	s_and_saveexec_b32 s3, vcc_lo
	s_cbranch_execz .LBB0_3
; %bb.2:
	s_load_b64 s[4:5], s[0:1], 0x18
	s_wait_kmcnt 0x0
	s_load_b128 s[4:7], s[4:5], 0x0
	s_clause 0x3
	global_load_b64 v[1:2], v86, s[12:13]
	global_load_b64 v[3:4], v86, s[12:13] offset:1024
	global_load_b64 v[5:6], v86, s[12:13] offset:2048
	;; [unrolled: 1-line block ×3, first 2 shown]
	s_wait_kmcnt 0x0
	v_mad_co_u64_u32 v[9:10], null, s6, v73, 0
	v_mad_co_u64_u32 v[11:12], null, s4, v0, 0
	;; [unrolled: 1-line block ×5, first 2 shown]
	s_delay_alu instid0(VALU_DEP_4) | instskip(NEXT) | instid1(VALU_DEP_4)
	v_mad_co_u64_u32 v[27:28], null, s7, v73, v[10:11]
	v_mad_co_u64_u32 v[28:29], null, s5, v0, v[12:13]
	s_delay_alu instid0(VALU_DEP_4) | instskip(NEXT) | instid1(VALU_DEP_4)
	v_mad_co_u64_u32 v[29:30], null, s5, v78, v[14:15]
	v_mad_co_u64_u32 v[30:31], null, s5, v79, v[16:17]
	s_delay_alu instid0(VALU_DEP_4) | instskip(SKIP_1) | instid1(VALU_DEP_4)
	v_mov_b32_e32 v10, v27
	s_lshl_b64 s[14:15], s[4:5], 11
	v_mov_b32_e32 v12, v28
	v_mad_co_u64_u32 v[19:20], null, s4, v81, 0
	s_delay_alu instid0(VALU_DEP_3) | instskip(SKIP_1) | instid1(VALU_DEP_4)
	v_lshlrev_b64_e32 v[9:10], 3, v[9:10]
	v_mov_b32_e32 v14, v29
	v_lshlrev_b64_e32 v[11:12], 3, v[11:12]
	v_mov_b32_e32 v16, v30
	v_mad_co_u64_u32 v[21:22], null, s4, v83, 0
	v_add_co_u32 v56, s2, s10, v9
	v_lshlrev_b64_e32 v[13:14], 3, v[13:14]
	s_wait_alu 0xf1ff
	v_add_co_ci_u32_e64 v57, s2, s11, v10, s2
	s_delay_alu instid0(VALU_DEP_3) | instskip(SKIP_2) | instid1(VALU_DEP_3)
	v_add_co_u32 v11, s2, v56, v11
	v_lshlrev_b64_e32 v[9:10], 3, v[15:16]
	s_wait_alu 0xf1ff
	v_add_co_ci_u32_e64 v12, s2, v57, v12, s2
	v_add_co_u32 v13, s2, v56, v13
	s_wait_alu 0xf1ff
	v_add_co_ci_u32_e64 v14, s2, v57, v14, s2
	v_add_co_u32 v15, s2, v11, s14
	s_wait_alu 0xf1ff
	v_add_co_ci_u32_e64 v16, s2, s15, v12, s2
	v_add_co_u32 v9, s2, v56, v9
	s_wait_alu 0xf1ff
	v_add_co_ci_u32_e64 v10, s2, v57, v10, s2
	s_clause 0x3
	global_load_b64 v[11:12], v[11:12], off
	global_load_b64 v[13:14], v[13:14], off
	;; [unrolled: 1-line block ×4, first 2 shown]
	v_mad_co_u64_u32 v[23:24], null, s4, v84, 0
	v_mad_co_u64_u32 v[25:26], null, s4, v85, 0
	;; [unrolled: 1-line block ×4, first 2 shown]
	s_delay_alu instid0(VALU_DEP_4) | instskip(NEXT) | instid1(VALU_DEP_4)
	v_mad_co_u64_u32 v[33:34], null, s5, v83, v[22:23]
	v_mad_co_u64_u32 v[29:30], null, s5, v84, v[24:25]
	s_delay_alu instid0(VALU_DEP_4)
	v_mov_b32_e32 v18, v31
	v_add_co_u32 v15, s2, v15, s14
	s_wait_alu 0xf1ff
	v_add_co_ci_u32_e64 v16, s2, s15, v16, s2
	v_mov_b32_e32 v22, v33
	v_lshlrev_b64_e32 v[17:18], 3, v[17:18]
	v_mov_b32_e32 v24, v29
	v_mov_b32_e32 v20, v32
	s_delay_alu instid0(VALU_DEP_4) | instskip(NEXT) | instid1(VALU_DEP_4)
	v_lshlrev_b64_e32 v[21:22], 3, v[21:22]
	v_add_co_u32 v17, s2, v56, v17
	s_delay_alu instid0(VALU_DEP_4) | instskip(SKIP_2) | instid1(VALU_DEP_4)
	v_lshlrev_b64_e32 v[23:24], 3, v[23:24]
	s_wait_alu 0xf1ff
	v_add_co_ci_u32_e64 v18, s2, v57, v18, s2
	v_add_co_u32 v21, s2, v56, v21
	s_wait_alu 0xf1ff
	v_add_co_ci_u32_e64 v22, s2, v57, v22, s2
	v_add_co_u32 v23, s2, v56, v23
	s_wait_alu 0xf1ff
	v_add_co_ci_u32_e64 v24, s2, v57, v24, s2
	s_wait_loadcnt 0x2
	v_dual_mul_f32 v66, v12, v2 :: v_dual_mul_f32 v69, v13, v4
	s_wait_loadcnt 0x1
	v_mad_co_u64_u32 v[30:31], null, s5, v85, v[26:27]
	v_mad_co_u64_u32 v[31:32], null, s4, v82, 0
	s_delay_alu instid0(VALU_DEP_3) | instskip(NEXT) | instid1(VALU_DEP_3)
	v_fmac_f32_e32 v66, v11, v1
	v_mov_b32_e32 v26, v30
	s_delay_alu instid0(VALU_DEP_1) | instskip(NEXT) | instid1(VALU_DEP_1)
	v_lshlrev_b64_e32 v[25:26], 3, v[25:26]
	v_add_co_u32 v25, s2, v56, v25
	s_wait_alu 0xf1ff
	s_delay_alu instid0(VALU_DEP_2)
	v_add_co_ci_u32_e64 v26, s2, v57, v26, s2
	global_load_b64 v[21:22], v[21:22], off
	global_load_b64 v[29:30], v86, s[12:13] offset:11264
	global_load_b64 v[23:24], v[23:24], off
	global_load_b64 v[33:34], v86, s[12:13] offset:13312
	;; [unrolled: 2-line block ×3, first 2 shown]
	v_add_co_u32 v37, s2, v15, s14
	s_wait_alu 0xf1ff
	v_add_co_ci_u32_e64 v38, s2, s15, v16, s2
	s_wait_loadcnt 0x2
	v_mad_co_u64_u32 v[39:40], null, s5, v82, v[32:33]
	s_delay_alu instid0(VALU_DEP_1) | instskip(SKIP_2) | instid1(VALU_DEP_3)
	v_mov_b32_e32 v32, v39
	v_mul_f32_e32 v39, v11, v2
	v_mul_f32_e32 v11, v27, v6
	v_lshlrev_b64_e32 v[31:32], 3, v[31:32]
	s_delay_alu instid0(VALU_DEP_3) | instskip(SKIP_1) | instid1(VALU_DEP_1)
	v_fma_f32 v67, v12, v1, -v39
	v_mul_f32_e32 v1, v28, v6
	v_fmac_f32_e32 v1, v27, v5
	v_lshlrev_b64_e32 v[19:20], 3, v[19:20]
	s_delay_alu instid0(VALU_DEP_1) | instskip(SKIP_1) | instid1(VALU_DEP_2)
	v_add_co_u32 v19, s2, v56, v19
	s_wait_alu 0xf1ff
	v_add_co_ci_u32_e64 v20, s2, v57, v20, s2
	s_clause 0x2
	global_load_b64 v[40:41], v86, s[12:13] offset:8192
	global_load_b64 v[42:43], v86, s[12:13] offset:9216
	;; [unrolled: 1-line block ×3, first 2 shown]
	s_clause 0x3
	global_load_b64 v[15:16], v[15:16], off
	global_load_b64 v[17:18], v[17:18], off
	;; [unrolled: 1-line block ×4, first 2 shown]
	v_add_co_u32 v37, s2, v37, s14
	s_wait_alu 0xf1ff
	v_add_co_ci_u32_e64 v38, s2, s15, v38, s2
	v_add_co_u32 v31, s2, v56, v31
	s_wait_alu 0xf1ff
	v_add_co_ci_u32_e64 v32, s2, v57, v32, s2
	;; [unrolled: 3-line block ×3, first 2 shown]
	s_clause 0x3
	global_load_b64 v[48:49], v86, s[12:13] offset:4096
	global_load_b64 v[50:51], v86, s[12:13] offset:5120
	global_load_b64 v[52:53], v86, s[12:13] offset:6144
	global_load_b64 v[54:55], v86, s[12:13] offset:7168
	v_add_co_u32 v58, s2, v56, s14
	s_wait_alu 0xf1ff
	v_add_co_ci_u32_e64 v59, s2, s15, v57, s2
	s_clause 0x1
	global_load_b64 v[37:38], v[37:38], off
	global_load_b64 v[31:32], v[31:32], off
	;; [unrolled: 1-line block ×3, first 2 shown]
	v_add_co_u32 v60, s2, v58, s14
	s_wait_alu 0xf1ff
	v_add_co_ci_u32_e64 v61, s2, s15, v59, s2
	global_load_b64 v[62:63], v86, s[12:13] offset:12288
	global_load_b64 v[58:59], v[58:59], off
	global_load_b64 v[64:65], v86, s[12:13] offset:14336
	global_load_b64 v[60:61], v[60:61], off
	v_mul_f32_e32 v2, v14, v4
	v_mul_f32_e32 v6, v10, v8
	;; [unrolled: 1-line block ×5, first 2 shown]
	v_fmac_f32_e32 v2, v13, v3
	v_fma_f32 v3, v14, v3, -v69
	v_mul_f32_e32 v34, v23, v34
	ds_store_2addr_stride64_b64 v86, v[66:67], v[2:3] offset1:2
	v_fma_f32 v2, v28, v5, -v11
	s_wait_loadcnt 0xa
	v_mul_f32_e32 v5, v16, v49
	v_mul_f32_e32 v3, v15, v49
	s_delay_alu instid0(VALU_DEP_2)
	v_fmac_f32_e32 v5, v15, v48
	s_wait_loadcnt 0x5
	v_mul_f32_e32 v11, v32, v43
	s_wait_loadcnt 0x4
	v_mul_f32_e32 v13, v57, v45
	v_fmac_f32_e32 v6, v9, v7
	v_fma_f32 v7, v10, v7, -v8
	v_mul_f32_e32 v8, v18, v51
	v_mul_f32_e32 v9, v17, v51
	s_wait_loadcnt 0x2
	v_mul_f32_e32 v15, v59, v63
	v_fmac_f32_e32 v11, v31, v42
	v_dual_fmac_f32 v13, v56, v44 :: v_dual_fmac_f32 v8, v17, v50
	s_wait_loadcnt 0x0
	v_mul_f32_e32 v17, v61, v65
	v_fma_f32 v9, v18, v50, -v9
	v_fma_f32 v71, v24, v33, -v34
	v_fmac_f32_e32 v15, v58, v62
	s_delay_alu instid0(VALU_DEP_4)
	v_fmac_f32_e32 v17, v60, v64
	ds_store_2addr_stride64_b64 v86, v[1:2], v[6:7] offset0:4 offset1:6
	v_fma_f32 v6, v16, v48, -v3
	v_mul_f32_e32 v3, v19, v55
	v_dual_mul_f32 v7, v20, v55 :: v_dual_mul_f32 v4, v26, v36
	v_mul_f32_e32 v36, v25, v36
	ds_store_2addr_stride64_b64 v86, v[5:6], v[8:9] offset0:8 offset1:10
	v_mul_f32_e32 v5, v31, v43
	v_fma_f32 v8, v20, v54, -v3
	v_mul_f32_e32 v3, v37, v41
	v_mul_f32_e32 v1, v47, v53
	;; [unrolled: 1-line block ×3, first 2 shown]
	v_dual_mul_f32 v9, v38, v41 :: v_dual_mul_f32 v30, v21, v30
	s_delay_alu instid0(VALU_DEP_4) | instskip(NEXT) | instid1(VALU_DEP_4)
	v_fma_f32 v10, v38, v40, -v3
	v_fmac_f32_e32 v1, v46, v52
	v_mul_f32_e32 v3, v56, v45
	v_fmac_f32_e32 v70, v23, v33
	v_fma_f32 v12, v32, v42, -v5
	v_dual_mul_f32 v5, v58, v63 :: v_dual_mul_f32 v6, v60, v65
	v_fma_f32 v2, v47, v52, -v2
	v_fmac_f32_e32 v7, v19, v54
	v_fmac_f32_e32 v9, v37, v40
	v_fmac_f32_e32 v68, v21, v29
	v_fma_f32 v69, v22, v29, -v30
	v_fma_f32 v14, v57, v44, -v3
	v_fmac_f32_e32 v4, v25, v35
	v_fma_f32 v16, v59, v62, -v5
	v_fma_f32 v18, v61, v64, -v6
	;; [unrolled: 1-line block ×3, first 2 shown]
	ds_store_2addr_stride64_b64 v86, v[1:2], v[7:8] offset0:12 offset1:14
	ds_store_2addr_stride64_b64 v86, v[9:10], v[11:12] offset0:16 offset1:18
	;; [unrolled: 1-line block ×5, first 2 shown]
.LBB0_3:
	s_wait_alu 0xfffe
	s_or_b32 exec_lo, exec_lo, s3
	global_wb scope:SCOPE_SE
	s_wait_dscnt 0x0
	s_wait_kmcnt 0x0
	s_barrier_signal -1
	s_barrier_wait -1
	global_inv scope:SCOPE_SE
                                        ; implicit-def: $vgpr29
                                        ; implicit-def: $vgpr15
                                        ; implicit-def: $vgpr23
                                        ; implicit-def: $vgpr19
                                        ; implicit-def: $vgpr27
                                        ; implicit-def: $vgpr31
                                        ; implicit-def: $vgpr7
                                        ; implicit-def: $vgpr3
                                        ; implicit-def: $vgpr11
	s_and_saveexec_b32 s2, vcc_lo
	s_cbranch_execz .LBB0_5
; %bb.4:
	v_or_b32_e32 v29, 0x1c00, v86
	v_or_b32_e32 v30, 0x3c00, v86
	ds_load_2addr_stride64_b64 v[9:12], v86 offset1:2
	ds_load_2addr_stride64_b64 v[1:4], v86 offset0:4 offset1:6
	ds_load_2addr_stride64_b64 v[5:8], v86 offset0:8 offset1:10
	;; [unrolled: 1-line block ×6, first 2 shown]
	ds_load_b64 v[31:32], v29
	ds_load_b64 v[29:30], v30
.LBB0_5:
	s_wait_alu 0xfffe
	s_or_b32 exec_lo, exec_lo, s2
	s_wait_dscnt 0x4
	v_dual_sub_f32 v25, v9, v25 :: v_dual_sub_f32 v26, v10, v26
	s_wait_dscnt 0x2
	v_dual_sub_f32 v21, v5, v21 :: v_dual_sub_f32 v22, v6, v22
	v_dual_sub_f32 v17, v1, v17 :: v_dual_sub_f32 v18, v2, v18
	;; [unrolled: 1-line block ×5, first 2 shown]
	v_fma_f32 v9, v9, 2.0, -v25
	v_fma_f32 v5, v5, 2.0, -v21
	;; [unrolled: 1-line block ×8, first 2 shown]
	v_sub_f32_e32 v22, v25, v22
	v_dual_sub_f32 v16, v17, v16 :: v_dual_add_f32 v15, v15, v18
	v_fma_f32 v10, v10, 2.0, -v26
	v_fma_f32 v2, v2, 2.0, -v18
	;; [unrolled: 1-line block ×3, first 2 shown]
	v_dual_sub_f32 v19, v3, v19 :: v_dual_sub_f32 v20, v4, v20
	s_wait_dscnt 0x0
	v_dual_sub_f32 v29, v31, v29 :: v_dual_sub_f32 v30, v32, v30
	v_fma_f32 v8, v8, 2.0, -v24
	v_dual_sub_f32 v5, v9, v5 :: v_dual_sub_f32 v6, v10, v6
	v_add_f32_e32 v21, v21, v26
	v_dual_sub_f32 v13, v1, v13 :: v_dual_sub_f32 v14, v2, v14
	v_sub_f32_e32 v7, v11, v7
	v_fma_f32 v25, v25, 2.0, -v22
	v_fma_f32 v17, v17, 2.0, -v16
	;; [unrolled: 1-line block ×8, first 2 shown]
	v_sub_f32_e32 v8, v12, v8
	v_fma_f32 v26, v26, 2.0, -v21
	v_fma_f32 v18, v18, 2.0, -v15
	v_dual_sub_f32 v24, v27, v24 :: v_dual_fmamk_f32 v47, v17, 0xbf3504f3, v25
	v_dual_sub_f32 v30, v19, v30 :: v_dual_add_f32 v29, v29, v20
	v_dual_sub_f32 v31, v3, v31 :: v_dual_sub_f32 v32, v4, v32
	s_delay_alu instid0(VALU_DEP_4) | instskip(NEXT) | instid1(VALU_DEP_4)
	v_dual_sub_f32 v1, v9, v1 :: v_dual_fmamk_f32 v48, v18, 0xbf3504f3, v26
	v_fmac_f32_e32 v47, 0xbf3504f3, v18
	s_delay_alu instid0(VALU_DEP_4)
	v_fma_f32 v18, v20, 2.0, -v29
	v_fmamk_f32 v20, v16, 0x3f3504f3, v22
	v_fma_f32 v10, v10, 2.0, -v6
	v_fma_f32 v2, v2, 2.0, -v14
	v_add_f32_e32 v23, v23, v28
	v_fma_f32 v12, v12, 2.0, -v8
	v_fma_f32 v27, v27, 2.0, -v24
	;; [unrolled: 1-line block ×3, first 2 shown]
	v_sub_f32_e32 v2, v10, v2
	v_fma_f32 v19, v19, 2.0, -v30
	v_dual_fmac_f32 v48, 0x3f3504f3, v17 :: v_dual_add_f32 v13, v13, v6
	v_fmac_f32_e32 v20, 0xbf3504f3, v15
	v_fma_f32 v17, v25, 2.0, -v47
	v_fmamk_f32 v25, v15, 0x3f3504f3, v21
	v_fma_f32 v11, v11, 2.0, -v7
	v_fma_f32 v28, v28, 2.0, -v23
	;; [unrolled: 1-line block ×3, first 2 shown]
	s_delay_alu instid0(VALU_DEP_4) | instskip(SKIP_4) | instid1(VALU_DEP_4)
	v_dual_sub_f32 v14, v5, v14 :: v_dual_fmac_f32 v25, 0x3f3504f3, v16
	v_dual_fmamk_f32 v15, v19, 0xbf3504f3, v27 :: v_dual_sub_f32 v4, v12, v4
	v_fma_f32 v10, v10, 2.0, -v2
	v_fma_f32 v16, v22, 2.0, -v20
	v_dual_sub_f32 v3, v11, v3 :: v_dual_fmamk_f32 v22, v18, 0xbf3504f3, v28
	v_fma_f32 v12, v12, 2.0, -v4
	v_fmac_f32_e32 v15, 0xbf3504f3, v18
	v_fma_f32 v18, v21, 2.0, -v25
	v_dual_fmamk_f32 v21, v30, 0x3f3504f3, v24 :: v_dual_fmamk_f32 v58, v29, 0x3f3504f3, v23
	v_add_f32_e32 v57, v31, v8
	v_fma_f32 v9, v9, 2.0, -v1
	v_fma_f32 v6, v6, 2.0, -v13
	v_fma_f32 v11, v11, 2.0, -v3
	v_fmac_f32_e32 v58, 0x3f3504f3, v30
	v_fmac_f32_e32 v22, 0x3f3504f3, v19
	v_fma_f32 v8, v8, 2.0, -v57
	v_dual_fmac_f32 v21, 0xbf3504f3, v29 :: v_dual_sub_f32 v38, v10, v12
	v_fma_f32 v19, v27, 2.0, -v15
	s_delay_alu instid0(VALU_DEP_3) | instskip(SKIP_3) | instid1(VALU_DEP_4)
	v_dual_sub_f32 v27, v7, v32 :: v_dual_fmamk_f32 v42, v8, 0xbf3504f3, v6
	v_fma_f32 v26, v26, 2.0, -v48
	v_fma_f32 v5, v5, 2.0, -v14
	;; [unrolled: 1-line block ×4, first 2 shown]
	v_sub_f32_e32 v37, v9, v11
	v_fma_f32 v11, v24, 2.0, -v21
	v_dual_fmamk_f32 v39, v19, 0xbf6c835e, v17 :: v_dual_lshlrev_b32 v88, 7, v0
	v_fma_f32 v12, v23, 2.0, -v58
	v_fmamk_f32 v40, v28, 0xbf6c835e, v26
	v_fmamk_f32 v41, v7, 0xbf3504f3, v5
	s_delay_alu instid0(VALU_DEP_4)
	v_fmac_f32_e32 v39, 0xbec3ef15, v28
	v_fmamk_f32 v43, v11, 0xbec3ef15, v16
	v_fmamk_f32 v44, v12, 0xbec3ef15, v18
	v_dual_fmamk_f32 v51, v15, 0x3ec3ef15, v47 :: v_dual_fmamk_f32 v52, v22, 0x3ec3ef15, v48
	v_dual_fmamk_f32 v53, v27, 0x3f3504f3, v14 :: v_dual_fmamk_f32 v54, v57, 0x3f3504f3, v13
	;; [unrolled: 1-line block ×3, first 2 shown]
	v_dual_fmac_f32 v40, 0x3ec3ef15, v19 :: v_dual_sub_f32 v49, v1, v4
	v_dual_fmac_f32 v41, 0xbf3504f3, v8 :: v_dual_add_f32 v50, v3, v2
	v_fmac_f32_e32 v42, 0x3f3504f3, v7
	v_fmac_f32_e32 v43, 0xbf6c835e, v12
	;; [unrolled: 1-line block ×9, first 2 shown]
	v_fma_f32 v29, v9, 2.0, -v37
	v_fma_f32 v30, v10, 2.0, -v38
	;; [unrolled: 1-line block ×16, first 2 shown]
	global_wb scope:SCOPE_SE
	s_barrier_signal -1
	s_barrier_wait -1
	global_inv scope:SCOPE_SE
	s_and_saveexec_b32 s2, vcc_lo
	s_cbranch_execz .LBB0_7
; %bb.6:
	ds_store_b128 v88, v[29:32]
	ds_store_b128 v88, v[33:36] offset:16
	ds_store_b128 v88, v[45:48] offset:32
	;; [unrolled: 1-line block ×7, first 2 shown]
.LBB0_7:
	s_wait_alu 0xfffe
	s_or_b32 exec_lo, exec_lo, s2
	s_clause 0x1
	s_load_b64 s[2:3], s[0:1], 0x20
	s_load_b64 s[0:1], s[0:1], 0x8
	global_wb scope:SCOPE_SE
	s_wait_dscnt 0x0
	s_wait_kmcnt 0x0
	s_barrier_signal -1
	s_barrier_wait -1
	global_inv scope:SCOPE_SE
	s_and_saveexec_b32 s4, vcc_lo
	s_cbranch_execz .LBB0_9
; %bb.8:
	v_or_b32_e32 v5, 0x1c00, v86
	ds_load_2addr_stride64_b64 v[29:32], v86 offset1:2
	ds_load_2addr_stride64_b64 v[33:36], v86 offset0:4 offset1:6
	ds_load_2addr_stride64_b64 v[1:4], v86 offset0:12 offset1:28
	;; [unrolled: 1-line block ×3, first 2 shown]
	v_or_b32_e32 v6, 0x3c00, v86
	ds_load_2addr_stride64_b64 v[37:40], v86 offset0:16 offset1:18
	ds_load_2addr_stride64_b64 v[41:44], v86 offset0:20 offset1:22
	;; [unrolled: 1-line block ×3, first 2 shown]
	ds_load_b64 v[59:60], v5
	ds_load_b64 v[55:56], v6
	s_wait_dscnt 0x6
	v_dual_mov_b32 v53, v3 :: v_dual_mov_b32 v54, v4
	v_dual_mov_b32 v57, v1 :: v_dual_mov_b32 v58, v2
.LBB0_9:
	s_wait_alu 0xfffe
	s_or_b32 exec_lo, exec_lo, s4
	v_and_b32_e32 v87, 15, v0
	s_delay_alu instid0(VALU_DEP_1)
	v_mad_co_u64_u32 v[61:62], null, 0x78, v87, s[0:1]
	s_clause 0x7
	global_load_b128 v[9:12], v[61:62], off
	global_load_b128 v[5:8], v[61:62], off offset:16
	global_load_b128 v[13:16], v[61:62], off offset:32
	;; [unrolled: 1-line block ×6, first 2 shown]
	global_load_b64 v[74:75], v[61:62], off offset:112
	global_wb scope:SCOPE_SE
	s_wait_loadcnt_dscnt 0x0
	s_barrier_signal -1
	s_barrier_wait -1
	global_inv scope:SCOPE_SE
	v_mul_f32_e32 v62, v31, v10
	v_dual_mul_f32 v65, v36, v6 :: v_dual_mul_f32 v68, v45, v8
	v_dual_mul_f32 v89, v38, v4 :: v_dual_mul_f32 v92, v39, v22
	;; [unrolled: 1-line block ×4, first 2 shown]
	s_delay_alu instid0(VALU_DEP_3) | instskip(SKIP_3) | instid1(VALU_DEP_4)
	v_fma_f32 v37, v37, v3, -v89
	v_dual_mul_f32 v61, v32, v10 :: v_dual_mul_f32 v64, v33, v12
	v_dual_mul_f32 v69, v48, v14 :: v_dual_mul_f32 v72, v57, v16
	;; [unrolled: 1-line block ×3, first 2 shown]
	v_dual_fmac_f32 v68, v46, v7 :: v_dual_sub_f32 v37, v29, v37
	v_fmac_f32_e32 v98, v50, v19
	v_fmac_f32_e32 v90, v38, v3
	v_dual_mul_f32 v63, v34, v12 :: v_dual_mul_f32 v66, v35, v6
	v_dual_mul_f32 v67, v46, v8 :: v_dual_mul_f32 v70, v47, v14
	;; [unrolled: 1-line block ×5, first 2 shown]
	v_dual_fmac_f32 v64, v34, v11 :: v_dual_fmac_f32 v77, v60, v1
	v_fma_f32 v34, v35, v5, -v65
	v_fma_f32 v35, v47, v13, -v69
	v_sub_f32_e32 v47, v68, v98
	v_dual_mul_f32 v103, v56, v75 :: v_dual_sub_f32 v46, v30, v90
	v_fmac_f32_e32 v92, v40, v21
	v_fma_f32 v40, v43, v17, -v95
	v_dual_fmac_f32 v104, v56, v74 :: v_dual_mul_f32 v71, v58, v16
	v_mul_f32_e32 v76, v60, v2
	v_dual_mul_f32 v99, v52, v26 :: v_dual_mul_f32 v102, v53, v28
	v_fmac_f32_e32 v70, v48, v13
	v_fma_f32 v38, v39, v21, -v91
	v_fma_f32 v39, v41, v23, -v93
	;; [unrolled: 1-line block ×3, first 2 shown]
	v_fmac_f32_e32 v100, v52, v25
	v_fma_f32 v43, v53, v27, -v101
	v_sub_f32_e32 v40, v34, v40
	v_dual_sub_f32 v53, v77, v104 :: v_dual_fmac_f32 v62, v32, v9
	v_fma_f32 v32, v45, v7, -v67
	v_fma_f32 v33, v33, v11, -v63
	v_fmac_f32_e32 v66, v36, v5
	v_fma_f32 v36, v57, v15, -v71
	s_delay_alu instid0(VALU_DEP_4) | instskip(SKIP_4) | instid1(VALU_DEP_4)
	v_dual_fmac_f32 v72, v58, v15 :: v_dual_sub_f32 v41, v32, v41
	v_fmac_f32_e32 v102, v54, v27
	v_fma_f32 v60, v77, 2.0, -v53
	v_dual_sub_f32 v53, v40, v53 :: v_dual_fmac_f32 v94, v42, v23
	v_fma_f32 v31, v31, v9, -v61
	v_sub_f32_e32 v49, v72, v102
	v_fma_f32 v42, v51, v25, -v99
	v_sub_f32_e32 v39, v33, v39
	s_delay_alu instid0(VALU_DEP_4)
	v_dual_sub_f32 v43, v36, v43 :: v_dual_sub_f32 v38, v31, v38
	v_fma_f32 v54, v29, 2.0, -v37
	v_fma_f32 v29, v32, 2.0, -v41
	v_sub_f32_e32 v48, v64, v94
	v_fma_f32 v45, v59, v1, -v76
	v_dual_sub_f32 v51, v70, v100 :: v_dual_fmac_f32 v96, v44, v17
	v_fma_f32 v44, v55, v74, -v103
	v_fma_f32 v55, v30, 2.0, -v46
	v_fma_f32 v30, v68, 2.0, -v47
	;; [unrolled: 1-line block ×4, first 2 shown]
	v_sub_f32_e32 v47, v37, v47
	v_add_f32_e32 v41, v46, v41
	v_sub_f32_e32 v49, v39, v49
	v_dual_sub_f32 v42, v35, v42 :: v_dual_sub_f32 v61, v54, v29
	v_dual_sub_f32 v50, v62, v92 :: v_dual_add_f32 v43, v48, v43
	v_fma_f32 v32, v33, 2.0, -v39
	v_fma_f32 v33, v64, 2.0, -v48
	;; [unrolled: 1-line block ×3, first 2 shown]
	s_delay_alu instid0(VALU_DEP_4)
	v_fma_f32 v57, v62, 2.0, -v50
	v_fma_f32 v58, v70, 2.0, -v51
	;; [unrolled: 1-line block ×4, first 2 shown]
	v_sub_f32_e32 v44, v45, v44
	v_fmamk_f32 v29, v49, 0x3f3504f3, v47
	v_fma_f32 v35, v35, 2.0, -v42
	v_fma_f32 v34, v34, 2.0, -v40
	v_sub_f32_e32 v51, v38, v51
	v_fma_f32 v63, v37, 2.0, -v47
	v_sub_f32_e32 v37, v33, v56
	v_sub_f32_e32 v56, v57, v58
	v_dual_sub_f32 v48, v31, v35 :: v_dual_fmamk_f32 v35, v46, 0xbf3504f3, v64
	v_fma_f32 v45, v45, 2.0, -v44
	v_sub_f32_e32 v52, v66, v96
	v_fma_f32 v39, v39, 2.0, -v49
	v_fma_f32 v65, v38, 2.0, -v51
	;; [unrolled: 1-line block ×3, first 2 shown]
	v_sub_f32_e32 v38, v34, v45
	s_delay_alu instid0(VALU_DEP_4) | instskip(SKIP_1) | instid1(VALU_DEP_4)
	v_dual_sub_f32 v62, v55, v30 :: v_dual_fmac_f32 v35, 0x3f3504f3, v39
	v_fma_f32 v40, v33, 2.0, -v37
	v_fmamk_f32 v71, v58, 0xbf3504f3, v65
	s_delay_alu instid0(VALU_DEP_4)
	v_add_f32_e32 v77, v56, v38
	v_fma_f32 v67, v31, 2.0, -v48
	v_sub_f32_e32 v31, v61, v37
	v_fma_f32 v59, v66, 2.0, -v52
	v_add_f32_e32 v42, v50, v42
	v_fma_f32 v55, v55, 2.0, -v62
	v_dual_fmamk_f32 v33, v39, 0xbf3504f3, v63 :: v_dual_sub_f32 v36, v32, v36
	s_delay_alu instid0(VALU_DEP_4)
	v_sub_f32_e32 v45, v59, v60
	v_dual_add_f32 v44, v52, v44 :: v_dual_fmac_f32 v29, 0xbf3504f3, v43
	v_fma_f32 v54, v54, 2.0, -v61
	v_sub_f32_e32 v37, v55, v40
	v_fma_f32 v68, v57, 2.0, -v56
	v_fma_f32 v57, v34, 2.0, -v38
	;; [unrolled: 1-line block ×3, first 2 shown]
	v_fmamk_f32 v30, v43, 0x3f3504f3, v41
	v_fmac_f32_e32 v33, 0xbf3504f3, v46
	v_fma_f32 v32, v32, 2.0, -v36
	v_fma_f32 v34, v61, 2.0, -v31
	v_sub_f32_e32 v76, v48, v45
	v_fmamk_f32 v60, v53, 0x3f3504f3, v51
	v_fma_f32 v39, v47, 2.0, -v29
	v_dual_sub_f32 v32, v54, v32 :: v_dual_sub_f32 v47, v68, v59
	v_fmac_f32_e32 v30, 0x3f3504f3, v49
	v_fma_f32 v59, v48, 2.0, -v76
	v_fma_f32 v50, v50, 2.0, -v42
	;; [unrolled: 1-line block ×5, first 2 shown]
	v_sub_f32_e32 v41, v67, v57
	v_dual_fmamk_f32 v55, v59, 0xbf3504f3, v34 :: v_dual_add_f32 v36, v62, v36
	v_fmamk_f32 v43, v76, 0x3f3504f3, v31
	v_fmac_f32_e32 v60, 0xbf3504f3, v44
	v_dual_fmamk_f32 v72, v52, 0xbf3504f3, v50 :: v_dual_fmac_f32 v71, 0xbf3504f3, v52
	v_fma_f32 v48, v67, 2.0, -v41
	s_delay_alu instid0(VALU_DEP_4) | instskip(NEXT) | instid1(VALU_DEP_4)
	v_fmac_f32_e32 v43, 0xbf3504f3, v77
	v_fmamk_f32 v69, v60, 0x3f6c835e, v29
	v_fma_f32 v45, v54, 2.0, -v32
	v_fmamk_f32 v66, v44, 0x3f3504f3, v42
	v_fma_f32 v38, v62, 2.0, -v36
	v_fmac_f32_e32 v72, 0x3f3504f3, v58
	v_fma_f32 v62, v51, 2.0, -v60
	v_fma_f32 v61, v56, 2.0, -v77
	v_fmac_f32_e32 v66, 0x3f3504f3, v53
	v_fma_f32 v57, v63, 2.0, -v33
	v_fma_f32 v58, v64, 2.0, -v35
	;; [unrolled: 1-line block ×6, first 2 shown]
	v_fmamk_f32 v49, v62, 0xbec3ef15, v39
	v_fmamk_f32 v44, v77, 0x3f3504f3, v36
	v_dual_fmamk_f32 v56, v61, 0xbf3504f3, v38 :: v_dual_fmac_f32 v55, 0xbf3504f3, v61
	v_dual_fmamk_f32 v50, v89, 0xbec3ef15, v40 :: v_dual_sub_f32 v51, v32, v47
	v_dual_add_f32 v52, v37, v41 :: v_dual_fmamk_f32 v41, v71, 0x3ec3ef15, v33
	v_dual_fmamk_f32 v42, v72, 0x3ec3ef15, v35 :: v_dual_sub_f32 v47, v45, v48
	v_dual_sub_f32 v48, v46, v53 :: v_dual_fmamk_f32 v53, v63, 0xbf6c835e, v57
	v_dual_fmamk_f32 v54, v64, 0xbf6c835e, v58 :: v_dual_fmac_f32 v49, 0xbf6c835e, v89
	v_dual_fmamk_f32 v70, v66, 0x3f6c835e, v30 :: v_dual_lshlrev_b32 v89, 4, v0
	v_fmac_f32_e32 v69, 0xbec3ef15, v66
	v_fmac_f32_e32 v44, 0x3f3504f3, v76
	;; [unrolled: 1-line block ×9, first 2 shown]
	s_and_saveexec_b32 s4, vcc_lo
	s_cbranch_execz .LBB0_11
; %bb.10:
	v_fma_f32 v60, v35, 2.0, -v42
	v_and_or_b32 v35, 0x700, v89, v87
	v_fma_f32 v58, v58, 2.0, -v54
	v_fma_f32 v57, v57, 2.0, -v53
	;; [unrolled: 1-line block ×4, first 2 shown]
	v_lshlrev_b32_e32 v61, 3, v35
	v_fma_f32 v59, v33, 2.0, -v41
	v_fma_f32 v33, v37, 2.0, -v52
	;; [unrolled: 1-line block ×11, first 2 shown]
	ds_store_2addr_b64 v61, v[45:46], v[57:58] offset1:16
	ds_store_2addr_b64 v61, v[37:38], v[39:40] offset0:32 offset1:48
	ds_store_2addr_b64 v61, v[32:33], v[59:60] offset0:64 offset1:80
	;; [unrolled: 1-line block ×7, first 2 shown]
.LBB0_11:
	s_wait_alu 0xfffe
	s_or_b32 exec_lo, exec_lo, s4
	v_mad_co_u64_u32 v[45:46], null, v0, 56, s[0:1]
	s_load_b128 s[0:3], s[2:3], 0x0
	global_wb scope:SCOPE_SE
	s_wait_dscnt 0x0
	s_wait_kmcnt 0x0
	s_barrier_signal -1
	s_barrier_wait -1
	global_inv scope:SCOPE_SE
	s_clause 0x3
	global_load_b128 v[37:40], v[45:46], off offset:1920
	global_load_b128 v[33:36], v[45:46], off offset:1936
	;; [unrolled: 1-line block ×3, first 2 shown]
	global_load_b64 v[76:77], v[45:46], off offset:1968
	ds_load_2addr_stride64_b64 v[57:60], v86 offset1:4
	ds_load_2addr_stride64_b64 v[61:64], v86 offset0:8 offset1:12
	ds_load_2addr_stride64_b64 v[65:68], v86 offset0:16 offset1:20
	;; [unrolled: 1-line block ×3, first 2 shown]
	s_wait_loadcnt_dscnt 0x302
	v_dual_mul_f32 v45, v60, v38 :: v_dual_mul_f32 v72, v61, v40
	v_dual_mul_f32 v46, v59, v38 :: v_dual_mul_f32 v71, v62, v40
	s_wait_loadcnt_dscnt 0x201
	v_dual_mul_f32 v94, v64, v34 :: v_dual_mul_f32 v97, v65, v36
	v_dual_mul_f32 v95, v63, v34 :: v_dual_mul_f32 v96, v66, v36
	s_wait_loadcnt_dscnt 0x0
	v_dual_mul_f32 v99, v67, v30 :: v_dual_mul_f32 v102, v93, v77
	v_dual_mul_f32 v98, v68, v30 :: v_dual_mul_f32 v101, v90, v32
	v_dual_mul_f32 v100, v91, v32 :: v_dual_mul_f32 v103, v92, v77
	v_dual_fmac_f32 v46, v60, v37 :: v_dual_fmac_f32 v97, v66, v35
	v_dual_fmac_f32 v72, v62, v39 :: v_dual_fmac_f32 v95, v64, v33
	v_fma_f32 v60, v63, v33, -v94
	v_fma_f32 v64, v92, v76, -v102
	;; [unrolled: 1-line block ×6, first 2 shown]
	v_dual_fmac_f32 v101, v91, v31 :: v_dual_sub_f32 v64, v60, v64
	v_fmac_f32_e32 v103, v93, v76
	s_delay_alu instid0(VALU_DEP_3) | instskip(NEXT) | instid1(VALU_DEP_3)
	v_dual_fmac_f32 v99, v68, v29 :: v_dual_sub_f32 v62, v45, v62
	v_sub_f32_e32 v66, v72, v101
	s_delay_alu instid0(VALU_DEP_3) | instskip(SKIP_1) | instid1(VALU_DEP_4)
	v_dual_sub_f32 v61, v57, v61 :: v_dual_sub_f32 v68, v95, v103
	v_sub_f32_e32 v65, v58, v97
	v_fma_f32 v45, v45, 2.0, -v62
	s_delay_alu instid0(VALU_DEP_4) | instskip(NEXT) | instid1(VALU_DEP_4)
	v_fma_f32 v71, v72, 2.0, -v66
	v_sub_f32_e32 v66, v61, v66
	v_fma_f32 v60, v60, 2.0, -v64
	v_fma_f32 v58, v58, 2.0, -v65
	v_fma_f32 v63, v90, v31, -v100
	v_fma_f32 v57, v57, 2.0, -v61
	v_fma_f32 v92, v61, 2.0, -v66
	v_sub_f32_e32 v61, v45, v60
	v_sub_f32_e32 v91, v58, v71
	;; [unrolled: 1-line block ×3, first 2 shown]
	v_fma_f32 v72, v95, 2.0, -v68
	s_delay_alu instid0(VALU_DEP_3) | instskip(NEXT) | instid1(VALU_DEP_3)
	v_fma_f32 v95, v58, 2.0, -v91
	v_add_f32_e32 v64, v67, v64
	v_sub_f32_e32 v63, v59, v63
	v_fma_f32 v46, v46, 2.0, -v67
	s_delay_alu instid0(VALU_DEP_2) | instskip(NEXT) | instid1(VALU_DEP_1)
	v_add_f32_e32 v90, v65, v63
	v_fma_f32 v93, v65, 2.0, -v90
	s_delay_alu instid0(VALU_DEP_3) | instskip(SKIP_2) | instid1(VALU_DEP_3)
	v_dual_sub_f32 v65, v46, v72 :: v_dual_fmamk_f32 v72, v64, 0x3f3504f3, v90
	v_fma_f32 v59, v59, 2.0, -v63
	v_sub_f32_e32 v63, v62, v68
	v_fma_f32 v58, v46, 2.0, -v65
	s_delay_alu instid0(VALU_DEP_2) | instskip(SKIP_3) | instid1(VALU_DEP_4)
	v_dual_sub_f32 v68, v57, v59 :: v_dual_fmamk_f32 v71, v63, 0x3f3504f3, v66
	v_fma_f32 v62, v62, 2.0, -v63
	v_fmac_f32_e32 v72, 0x3f3504f3, v63
	v_add_f32_e32 v46, v91, v61
	v_fma_f32 v94, v57, 2.0, -v68
	v_fma_f32 v57, v45, 2.0, -v61
	v_fmamk_f32 v59, v62, 0xbf3504f3, v92
	v_fma_f32 v67, v67, 2.0, -v64
	v_dual_fmac_f32 v71, 0xbf3504f3, v64 :: v_dual_sub_f32 v58, v95, v58
	s_delay_alu instid0(VALU_DEP_4) | instskip(SKIP_1) | instid1(VALU_DEP_4)
	v_sub_f32_e32 v57, v94, v57
	v_fma_f32 v64, v90, 2.0, -v72
	v_dual_fmamk_f32 v60, v67, 0xbf3504f3, v93 :: v_dual_sub_f32 v45, v68, v65
	v_fmac_f32_e32 v59, 0xbf3504f3, v67
	v_fma_f32 v63, v66, 2.0, -v71
	v_fma_f32 v65, v94, 2.0, -v57
	s_delay_alu instid0(VALU_DEP_4)
	v_fmac_f32_e32 v60, 0x3f3504f3, v62
	v_fma_f32 v61, v68, 2.0, -v45
	v_fma_f32 v62, v91, 2.0, -v46
	;; [unrolled: 1-line block ×5, first 2 shown]
	ds_store_2addr_stride64_b64 v86, v[45:46], v[71:72] offset0:24 offset1:28
	ds_store_2addr_stride64_b64 v86, v[61:62], v[63:64] offset0:8 offset1:12
	ds_store_2addr_stride64_b64 v86, v[57:58], v[59:60] offset0:16 offset1:20
	ds_store_2addr_stride64_b64 v86, v[65:66], v[67:68] offset1:4
	global_wb scope:SCOPE_SE
	s_wait_dscnt 0x0
	s_barrier_signal -1
	s_barrier_wait -1
	global_inv scope:SCOPE_SE
	s_and_saveexec_b32 s6, vcc_lo
	s_cbranch_execz .LBB0_13
; %bb.12:
	s_add_nc_u64 s[4:5], s[12:13], 0x4000
	s_clause 0xf
	global_load_b64 v[122:123], v86, s[12:13] offset:16384
	global_load_b64 v[124:125], v86, s[4:5] offset:1024
	;; [unrolled: 1-line block ×16, first 2 shown]
	ds_load_2addr_stride64_b64 v[90:93], v86 offset1:2
	ds_load_2addr_stride64_b64 v[94:97], v86 offset0:4 offset1:6
	ds_load_2addr_stride64_b64 v[98:101], v86 offset0:8 offset1:10
	;; [unrolled: 1-line block ×7, first 2 shown]
	s_wait_loadcnt_dscnt 0xe07
	v_dual_mul_f32 v155, v91, v123 :: v_dual_mul_f32 v156, v93, v125
	v_dual_mul_f32 v154, v90, v123 :: v_dual_mul_f32 v123, v92, v125
	s_wait_loadcnt_dscnt 0xc06
	v_dual_mul_f32 v157, v95, v127 :: v_dual_mul_f32 v158, v97, v129
	s_wait_loadcnt_dscnt 0xa05
	v_dual_mul_f32 v125, v94, v127 :: v_dual_mul_f32 v160, v101, v133
	v_dual_mul_f32 v127, v96, v129 :: v_dual_fmac_f32 v154, v91, v122
	s_wait_loadcnt_dscnt 0x804
	v_dual_mul_f32 v159, v99, v131 :: v_dual_mul_f32 v162, v105, v137
	s_wait_loadcnt_dscnt 0x603
	v_dual_mul_f32 v129, v98, v131 :: v_dual_mul_f32 v164, v109, v141
	v_mul_f32_e32 v131, v100, v133
	s_wait_loadcnt_dscnt 0x402
	v_dual_mul_f32 v161, v103, v135 :: v_dual_mul_f32 v166, v113, v145
	s_wait_loadcnt_dscnt 0x201
	v_dual_mul_f32 v133, v102, v135 :: v_dual_mul_f32 v168, v117, v149
	v_mul_f32_e32 v135, v104, v137
	s_wait_loadcnt_dscnt 0x0
	v_dual_mul_f32 v163, v107, v139 :: v_dual_mul_f32 v170, v121, v153
	v_mul_f32_e32 v137, v106, v139
	v_mul_f32_e32 v139, v108, v141
	;; [unrolled: 1-line block ×11, first 2 shown]
	v_fma_f32 v153, v90, v122, -v155
	v_fma_f32 v122, v92, v124, -v156
	v_fmac_f32_e32 v123, v93, v124
	v_fma_f32 v124, v94, v126, -v157
	v_fmac_f32_e32 v125, v95, v126
	;; [unrolled: 2-line block ×15, first 2 shown]
	ds_store_2addr_stride64_b64 v86, v[153:154], v[122:123] offset1:2
	ds_store_2addr_stride64_b64 v86, v[124:125], v[126:127] offset0:4 offset1:6
	ds_store_2addr_stride64_b64 v86, v[128:129], v[130:131] offset0:8 offset1:10
	;; [unrolled: 1-line block ×7, first 2 shown]
.LBB0_13:
	s_wait_alu 0xfffe
	s_or_b32 exec_lo, exec_lo, s6
	global_wb scope:SCOPE_SE
	s_wait_dscnt 0x0
	s_barrier_signal -1
	s_barrier_wait -1
	global_inv scope:SCOPE_SE
	s_and_saveexec_b32 s4, vcc_lo
	s_cbranch_execz .LBB0_15
; %bb.14:
	v_or_b32_e32 v69, 0x1c00, v86
	v_or_b32_e32 v70, 0x3c00, v86
	ds_load_2addr_stride64_b64 v[65:68], v86 offset1:2
	ds_load_2addr_stride64_b64 v[61:64], v86 offset0:4 offset1:6
	ds_load_2addr_stride64_b64 v[57:60], v86 offset0:8 offset1:10
	;; [unrolled: 1-line block ×6, first 2 shown]
	ds_load_b64 v[71:72], v69
	ds_load_b64 v[69:70], v70
.LBB0_15:
	s_wait_alu 0xfffe
	s_or_b32 exec_lo, exec_lo, s4
	s_wait_dscnt 0x5
	v_dual_sub_f32 v47, v65, v47 :: v_dual_sub_f32 v48, v66, v48
	s_wait_dscnt 0x3
	v_dual_sub_f32 v51, v57, v51 :: v_dual_sub_f32 v52, v58, v52
	v_dual_sub_f32 v55, v61, v55 :: v_dual_sub_f32 v56, v62, v56
	s_wait_dscnt 0x2
	v_dual_sub_f32 v43, v45, v43 :: v_dual_sub_f32 v44, v46, v44
	s_delay_alu instid0(VALU_DEP_3) | instskip(SKIP_2) | instid1(VALU_DEP_4)
	v_fma_f32 v57, v57, 2.0, -v51
	v_dual_sub_f32 v53, v67, v53 :: v_dual_sub_f32 v54, v68, v54
	v_fma_f32 v62, v62, 2.0, -v56
	v_fma_f32 v45, v45, 2.0, -v43
	;; [unrolled: 1-line block ×3, first 2 shown]
	v_dual_sub_f32 v41, v59, v41 :: v_dual_sub_f32 v42, v60, v42
	v_dual_sub_f32 v49, v63, v49 :: v_dual_sub_f32 v50, v64, v50
	s_wait_dscnt 0x0
	v_dual_sub_f32 v69, v71, v69 :: v_dual_sub_f32 v70, v72, v70
	v_dual_sub_f32 v51, v48, v51 :: v_dual_sub_f32 v46, v62, v46
	v_sub_f32_e32 v43, v56, v43
	v_fma_f32 v65, v65, 2.0, -v47
	v_fma_f32 v66, v66, 2.0, -v48
	;; [unrolled: 1-line block ×7, first 2 shown]
	v_add_f32_e32 v42, v42, v53
	v_fma_f32 v63, v63, 2.0, -v49
	v_fma_f32 v71, v71, 2.0, -v69
	;; [unrolled: 1-line block ×3, first 2 shown]
	v_dual_add_f32 v52, v52, v47 :: v_dual_sub_f32 v45, v61, v45
	v_fma_f32 v48, v48, 2.0, -v51
	v_dual_add_f32 v44, v44, v55 :: v_dual_sub_f32 v41, v54, v41
	v_fma_f32 v56, v56, 2.0, -v43
	v_add_f32_e32 v70, v70, v49
	v_fma_f32 v68, v68, 2.0, -v54
	v_fma_f32 v64, v64, 2.0, -v50
	v_dual_sub_f32 v57, v65, v57 :: v_dual_sub_f32 v58, v66, v58
	v_fma_f32 v47, v47, 2.0, -v52
	s_delay_alu instid0(VALU_DEP_4) | instskip(SKIP_3) | instid1(VALU_DEP_3)
	v_dual_sub_f32 v59, v67, v59 :: v_dual_sub_f32 v60, v68, v60
	v_fma_f32 v55, v55, 2.0, -v44
	v_dual_sub_f32 v71, v63, v71 :: v_dual_sub_f32 v72, v64, v72
	v_fma_f32 v53, v53, 2.0, -v42
	v_dual_sub_f32 v69, v50, v69 :: v_dual_fmamk_f32 v90, v55, 0xbf3504f3, v47
	v_fmamk_f32 v93, v56, 0xbf3504f3, v48
	v_fma_f32 v49, v49, 2.0, -v70
	v_fma_f32 v65, v65, 2.0, -v57
	;; [unrolled: 1-line block ×7, first 2 shown]
	v_dual_fmamk_f32 v94, v44, 0x3f3504f3, v52 :: v_dual_fmamk_f32 v97, v43, 0x3f3504f3, v51
	s_delay_alu instid0(VALU_DEP_3)
	v_dual_fmamk_f32 v98, v49, 0xbf3504f3, v53 :: v_dual_sub_f32 v99, v67, v63
	v_fma_f32 v66, v66, 2.0, -v58
	v_fma_f32 v62, v62, 2.0, -v46
	;; [unrolled: 1-line block ×4, first 2 shown]
	v_dual_sub_f32 v91, v65, v61 :: v_dual_fmac_f32 v90, 0x3f3504f3, v56
	v_add_f32_e32 v95, v46, v57
	v_dual_fmac_f32 v97, 0xbf3504f3, v44 :: v_dual_fmamk_f32 v100, v50, 0xbf3504f3, v54
	v_dual_fmac_f32 v98, 0x3f3504f3, v50 :: v_dual_sub_f32 v71, v60, v71
	v_sub_f32_e32 v92, v66, v62
	v_fma_f32 v56, v65, 2.0, -v91
	v_dual_fmac_f32 v93, 0xbf3504f3, v55 :: v_dual_sub_f32 v96, v58, v45
	v_fma_f32 v55, v47, 2.0, -v90
	v_dual_sub_f32 v64, v68, v64 :: v_dual_fmamk_f32 v101, v70, 0x3f3504f3, v42
	v_fmac_f32_e32 v94, 0x3f3504f3, v43
	v_fma_f32 v43, v67, 2.0, -v99
	v_fmac_f32_e32 v100, 0xbf3504f3, v49
	v_fma_f32 v49, v53, 2.0, -v98
	v_add_f32_e32 v72, v72, v59
	v_fma_f32 v61, v66, 2.0, -v92
	v_fma_f32 v65, v57, 2.0, -v95
	;; [unrolled: 1-line block ×3, first 2 shown]
	v_fmamk_f32 v47, v49, 0xbf6c835e, v55
	v_fma_f32 v50, v51, 2.0, -v97
	v_fma_f32 v53, v59, 2.0, -v72
	v_sub_f32_e32 v45, v56, v43
	v_fma_f32 v51, v54, 2.0, -v100
	v_fma_f32 v54, v60, 2.0, -v71
	;; [unrolled: 1-line block ×3, first 2 shown]
	v_fmamk_f32 v102, v69, 0x3f3504f3, v41
	v_fmac_f32_e32 v101, 0x3f3504f3, v69
	s_delay_alu instid0(VALU_DEP_4) | instskip(SKIP_2) | instid1(VALU_DEP_4)
	v_dual_fmamk_f32 v57, v53, 0xbf3504f3, v65 :: v_dual_fmamk_f32 v58, v54, 0xbf3504f3, v66
	v_fma_f32 v52, v52, 2.0, -v94
	v_fma_f32 v44, v68, 2.0, -v64
	;; [unrolled: 1-line block ×3, first 2 shown]
	v_fmamk_f32 v48, v51, 0xbf6c835e, v62
	v_dual_fmac_f32 v58, 0xbf3504f3, v53 :: v_dual_add_f32 v53, v64, v91
	v_fmac_f32_e32 v102, 0xbf3504f3, v70
	v_dual_sub_f32 v46, v61, v44 :: v_dual_fmac_f32 v47, 0x3ec3ef15, v51
	s_delay_alu instid0(VALU_DEP_4) | instskip(SKIP_1) | instid1(VALU_DEP_4)
	v_fmac_f32_e32 v48, 0xbec3ef15, v49
	v_fmamk_f32 v59, v63, 0xbec3ef15, v52
	v_fma_f32 v44, v41, 2.0, -v102
	v_fmac_f32_e32 v57, 0x3f3504f3, v54
	v_fma_f32 v41, v56, 2.0, -v45
	v_fma_f32 v42, v61, 2.0, -v46
	;; [unrolled: 1-line block ×3, first 2 shown]
	v_fmamk_f32 v60, v44, 0xbec3ef15, v50
	v_dual_sub_f32 v54, v92, v99 :: v_dual_fmac_f32 v59, 0x3f6c835e, v44
	v_fma_f32 v44, v62, 2.0, -v48
	v_fma_f32 v62, v66, 2.0, -v58
	v_fmamk_f32 v66, v71, 0x3f3504f3, v96
	v_fma_f32 v61, v65, 2.0, -v57
	v_dual_fmamk_f32 v55, v98, 0x3ec3ef15, v90 :: v_dual_fmamk_f32 v56, v100, 0x3ec3ef15, v93
	v_fmamk_f32 v65, v72, 0x3f3504f3, v95
	v_dual_fmamk_f32 v67, v101, 0x3f6c835e, v94 :: v_dual_fmamk_f32 v68, v102, 0x3f6c835e, v97
	v_fmac_f32_e32 v60, 0xbf6c835e, v63
	s_delay_alu instid0(VALU_DEP_4)
	v_fmac_f32_e32 v55, 0x3f6c835e, v100
	v_fmac_f32_e32 v56, 0xbf6c835e, v98
	;; [unrolled: 1-line block ×6, first 2 shown]
	v_fma_f32 v63, v52, 2.0, -v59
	v_fma_f32 v64, v50, 2.0, -v60
	;; [unrolled: 1-line block ×10, first 2 shown]
	global_wb scope:SCOPE_SE
	s_barrier_signal -1
	s_barrier_wait -1
	global_inv scope:SCOPE_SE
	s_and_saveexec_b32 s4, vcc_lo
	s_cbranch_execz .LBB0_17
; %bb.16:
	ds_store_b128 v88, v[41:44]
	ds_store_b128 v88, v[61:64] offset:16
	ds_store_b128 v88, v[49:52] offset:32
	;; [unrolled: 1-line block ×7, first 2 shown]
.LBB0_17:
	s_wait_alu 0xfffe
	s_or_b32 exec_lo, exec_lo, s4
	global_wb scope:SCOPE_SE
	s_wait_dscnt 0x0
	s_barrier_signal -1
	s_barrier_wait -1
	global_inv scope:SCOPE_SE
	s_and_saveexec_b32 s4, vcc_lo
	s_cbranch_execz .LBB0_19
; %bb.18:
	ds_load_2addr_stride64_b64 v[45:48], v86 offset0:26 offset1:28
	ds_load_2addr_stride64_b64 v[57:60], v86 offset0:22 offset1:24
	;; [unrolled: 1-line block ×4, first 2 shown]
	v_or_b32_e32 v53, 0x1c00, v86
	v_or_b32_e32 v54, 0x3c00, v86
	ds_load_2addr_stride64_b64 v[41:44], v86 offset1:2
	ds_load_2addr_stride64_b64 v[61:64], v86 offset0:4 offset1:6
	ds_load_2addr_stride64_b64 v[49:52], v86 offset0:8 offset1:10
	ds_load_b64 v[71:72], v53
	ds_load_b64 v[67:68], v54
	s_wait_dscnt 0x8
	v_dual_mov_b32 v65, v47 :: v_dual_mov_b32 v66, v48
	v_dual_mov_b32 v55, v45 :: v_dual_mov_b32 v56, v46
	s_wait_dscnt 0x7
	v_dual_mov_b32 v53, v59 :: v_dual_mov_b32 v54, v60
	v_dual_mov_b32 v59, v57 :: v_dual_mov_b32 v60, v58
	;; [unrolled: 3-line block ×4, first 2 shown]
.LBB0_19:
	s_wait_alu 0xfffe
	s_or_b32 exec_lo, exec_lo, s4
	global_wb scope:SCOPE_SE
	s_wait_dscnt 0x0
	s_barrier_signal -1
	s_barrier_wait -1
	global_inv scope:SCOPE_SE
	s_and_saveexec_b32 s4, vcc_lo
	s_cbranch_execz .LBB0_21
; %bb.20:
	v_mul_f32_e32 v92, v28, v66
	v_mul_f32_e32 v91, v16, v70
	;; [unrolled: 1-line block ×5, first 2 shown]
	v_fmac_f32_e32 v92, v27, v65
	v_fmac_f32_e32 v91, v15, v69
	v_mul_f32_e32 v93, v4, v45
	v_fmac_f32_e32 v95, v19, v53
	v_fmac_f32_e32 v94, v7, v49
	v_mul_f32_e32 v88, v12, v61
	v_sub_f32_e32 v92, v91, v92
	v_fma_f32 v93, v3, v46, -v93
	s_delay_alu instid0(VALU_DEP_4) | instskip(SKIP_2) | instid1(VALU_DEP_4)
	v_dual_mul_f32 v28, v28, v65 :: v_dual_sub_f32 v95, v94, v95
	v_mul_f32_e32 v12, v12, v62
	v_fma_f32 v88, v11, v62, -v88
	v_sub_f32_e32 v93, v42, v93
	v_mul_f32_e32 v90, v24, v57
	v_mul_f32_e32 v24, v24, v58
	v_dual_fmac_f32 v12, v11, v61 :: v_dual_mul_f32 v65, v26, v56
	s_delay_alu instid0(VALU_DEP_4) | instskip(NEXT) | instid1(VALU_DEP_4)
	v_sub_f32_e32 v97, v93, v95
	v_fma_f32 v90, v23, v58, -v90
	s_delay_alu instid0(VALU_DEP_4) | instskip(NEXT) | instid1(VALU_DEP_4)
	v_dual_fmac_f32 v24, v23, v57 :: v_dual_mul_f32 v11, v6, v63
	v_fmac_f32_e32 v65, v25, v55
	s_delay_alu instid0(VALU_DEP_3)
	v_dual_mul_f32 v23, v18, v59 :: v_dual_sub_f32 v90, v88, v90
	v_fma_f32 v15, v15, v70, -v16
	v_fma_f32 v16, v27, v66, -v28
	v_mul_f32_e32 v27, v2, v72
	v_mul_f32_e32 v57, v10, v43
	v_sub_f32_e32 v96, v90, v92
	v_mul_f32_e32 v62, v14, v52
	v_mul_f32_e32 v61, v22, v47
	v_dual_fmac_f32 v27, v1, v71 :: v_dual_mul_f32 v6, v6, v64
	s_delay_alu instid0(VALU_DEP_4)
	v_fmamk_f32 v58, v96, 0x3f3504f3, v97
	v_fma_f32 v11, v5, v64, -v11
	v_fma_f32 v57, v9, v44, -v57
	;; [unrolled: 1-line block ×3, first 2 shown]
	v_fmac_f32_e32 v62, v13, v51
	v_dual_fmac_f32 v6, v5, v63 :: v_dual_mul_f32 v5, v18, v60
	v_mul_f32_e32 v28, v75, v68
	v_mul_f32_e32 v14, v14, v51
	;; [unrolled: 1-line block ×5, first 2 shown]
	v_dual_sub_f32 v16, v15, v16 :: v_dual_sub_f32 v61, v57, v61
	v_fma_f32 v23, v17, v60, -v23
	v_dual_sub_f32 v24, v12, v24 :: v_dual_sub_f32 v65, v62, v65
	v_fmac_f32_e32 v28, v74, v67
	v_fma_f32 v13, v13, v52, -v14
	v_fma_f32 v14, v25, v56, -v18
	v_fmac_f32_e32 v10, v9, v43
	v_fmac_f32_e32 v22, v21, v47
	v_dual_sub_f32 v23, v11, v23 :: v_dual_add_f32 v66, v16, v24
	v_fmac_f32_e32 v5, v17, v59
	v_dual_sub_f32 v69, v61, v65 :: v_dual_sub_f32 v28, v27, v28
	v_sub_f32_e32 v14, v13, v14
	v_dual_sub_f32 v18, v10, v22 :: v_dual_mul_f32 v67, v75, v67
	v_fma_f32 v26, v42, 2.0, -v93
	v_fma_f32 v42, v12, 2.0, -v24
	;; [unrolled: 1-line block ×3, first 2 shown]
	s_delay_alu instid0(VALU_DEP_4)
	v_dual_add_f32 v21, v14, v18 :: v_dual_sub_f32 v64, v23, v28
	v_sub_f32_e32 v5, v6, v5
	v_fma_f32 v11, v88, 2.0, -v90
	v_mul_f32_e32 v4, v4, v46
	v_fma_f32 v43, v57, 2.0, -v61
	v_dual_fmamk_f32 v9, v64, 0x3f3504f3, v69 :: v_dual_mul_f32 v2, v2, v71
	v_fma_f32 v12, v6, 2.0, -v5
	s_delay_alu instid0(VALU_DEP_4) | instskip(SKIP_4) | instid1(VALU_DEP_1)
	v_fmac_f32_e32 v4, v3, v45
	v_fma_f32 v6, v27, 2.0, -v28
	v_fma_f32 v23, v23, 2.0, -v64
	v_fma_f32 v1, v1, v72, -v2
	v_fma_f32 v2, v74, v68, -v67
	v_dual_sub_f32 v17, v1, v2 :: v_dual_mul_f32 v2, v8, v49
	v_mul_f32_e32 v8, v20, v53
	s_delay_alu instid0(VALU_DEP_2) | instskip(NEXT) | instid1(VALU_DEP_2)
	v_fma_f32 v7, v7, v50, -v2
	v_fma_f32 v2, v19, v54, -v8
	v_sub_f32_e32 v8, v41, v4
	v_fma_f32 v4, v91, 2.0, -v92
	s_delay_alu instid0(VALU_DEP_3) | instskip(NEXT) | instid1(VALU_DEP_2)
	v_sub_f32_e32 v3, v7, v2
	v_sub_f32_e32 v27, v42, v4
	v_fma_f32 v4, v62, 2.0, -v65
	s_delay_alu instid0(VALU_DEP_3) | instskip(SKIP_1) | instid1(VALU_DEP_2)
	v_add_f32_e32 v22, v3, v8
	v_fma_f32 v3, v7, 2.0, -v3
	v_fmamk_f32 v25, v66, 0x3f3504f3, v22
	v_fma_f32 v7, v13, 2.0, -v14
	s_delay_alu instid0(VALU_DEP_3) | instskip(SKIP_1) | instid1(VALU_DEP_3)
	v_dual_sub_f32 v14, v12, v6 :: v_dual_sub_f32 v13, v26, v3
	v_fma_f32 v3, v1, 2.0, -v17
	v_dual_fmac_f32 v25, 0x3f3504f3, v96 :: v_dual_sub_f32 v28, v43, v7
	v_add_f32_e32 v20, v17, v5
	v_fma_f32 v7, v24, 2.0, -v66
	v_fma_f32 v24, v61, 2.0, -v69
	v_sub_f32_e32 v17, v13, v27
	v_sub_f32_e32 v45, v28, v14
	v_fmamk_f32 v19, v20, 0x3f3504f3, v21
	v_fmac_f32_e32 v9, 0xbf3504f3, v20
	v_fma_f32 v5, v5, 2.0, -v20
	v_fmamk_f32 v52, v23, 0xbf3504f3, v24
	s_delay_alu instid0(VALU_DEP_4) | instskip(NEXT) | instid1(VALU_DEP_1)
	v_fmac_f32_e32 v19, 0x3f3504f3, v64
	v_fmamk_f32 v1, v19, 0x3f6c835e, v25
	s_delay_alu instid0(VALU_DEP_1) | instskip(SKIP_2) | instid1(VALU_DEP_2)
	v_fmac_f32_e32 v1, 0x3ec3ef15, v9
	v_fma_f32 v49, v18, 2.0, -v21
	v_fma_f32 v10, v10, 2.0, -v18
	v_dual_fmac_f32 v58, 0xbf3504f3, v66 :: v_dual_fmamk_f32 v53, v5, 0xbf3504f3, v49
	s_delay_alu instid0(VALU_DEP_2) | instskip(NEXT) | instid1(VALU_DEP_2)
	v_sub_f32_e32 v47, v10, v4
	v_fmac_f32_e32 v53, 0x3f3504f3, v23
	v_fma_f32 v23, v26, 2.0, -v13
	v_fmac_f32_e32 v52, 0xbf3504f3, v5
	v_sub_f32_e32 v46, v44, v3
	v_fma_f32 v3, v15, 2.0, -v16
	v_fma_f32 v16, v41, 2.0, -v8
	;; [unrolled: 1-line block ×5, first 2 shown]
	v_sub_f32_e32 v15, v11, v3
	v_fma_f32 v3, v90, 2.0, -v96
	v_fma_f32 v10, v12, 2.0, -v14
	s_delay_alu instid0(VALU_DEP_3) | instskip(NEXT) | instid1(VALU_DEP_3)
	v_fma_f32 v11, v11, 2.0, -v15
	v_fmamk_f32 v51, v3, 0xbf3504f3, v41
	s_delay_alu instid0(VALU_DEP_2) | instskip(NEXT) | instid1(VALU_DEP_2)
	v_sub_f32_e32 v59, v23, v11
	v_fmac_f32_e32 v51, 0xbf3504f3, v7
	v_fma_f32 v50, v8, 2.0, -v22
	v_fma_f32 v8, v94, 2.0, -v95
	v_fmamk_f32 v2, v9, 0x3f6c835e, v58
	v_fma_f32 v9, v69, 2.0, -v9
	v_fma_f32 v41, v41, 2.0, -v51
	s_delay_alu instid0(VALU_DEP_4) | instskip(NEXT) | instid1(VALU_DEP_4)
	v_dual_fmamk_f32 v54, v7, 0xbf3504f3, v50 :: v_dual_sub_f32 v55, v16, v8
	v_fmac_f32_e32 v2, 0xbec3ef15, v19
	v_fma_f32 v19, v21, 2.0, -v19
	v_fma_f32 v21, v22, 2.0, -v25
	s_delay_alu instid0(VALU_DEP_4)
	v_fmac_f32_e32 v54, 0x3f3504f3, v3
	v_add_f32_e32 v56, v15, v55
	v_fma_f32 v4, v58, 2.0, -v2
	v_fma_f32 v58, v16, 2.0, -v55
	;; [unrolled: 1-line block ×3, first 2 shown]
	v_fmamk_f32 v7, v53, 0x3ec3ef15, v54
	v_fma_f32 v27, v43, 2.0, -v28
	v_fmamk_f32 v16, v9, 0xbec3ef15, v26
	v_fma_f32 v28, v28, 2.0, -v45
	v_fma_f32 v43, v24, 2.0, -v52
	v_dual_fmac_f32 v7, 0x3f6c835e, v52 :: v_dual_add_f32 v48, v46, v47
	v_fmamk_f32 v6, v45, 0x3f3504f3, v17
	v_fmac_f32_e32 v16, 0xbf6c835e, v19
	v_fma_f32 v18, v44, 2.0, -v46
	v_fma_f32 v44, v49, 2.0, -v53
	v_dual_fmamk_f32 v5, v48, 0x3f3504f3, v56 :: v_dual_sub_f32 v60, v57, v10
	v_fma_f32 v3, v25, 2.0, -v1
	s_delay_alu instid0(VALU_DEP_4) | instskip(SKIP_1) | instid1(VALU_DEP_4)
	v_sub_f32_e32 v42, v27, v18
	v_fma_f32 v22, v26, 2.0, -v16
	v_fmac_f32_e32 v5, 0x3f3504f3, v45
	v_sub_f32_e32 v45, v58, v15
	v_fmamk_f32 v15, v19, 0xbec3ef15, v21
	v_fma_f32 v19, v47, 2.0, -v48
	v_fmamk_f32 v26, v43, 0xbf6c835e, v41
	s_delay_alu instid0(VALU_DEP_4) | instskip(NEXT) | instid1(VALU_DEP_4)
	v_fma_f32 v47, v58, 2.0, -v45
	v_fmac_f32_e32 v15, 0x3f6c835e, v9
	v_fma_f32 v9, v55, 2.0, -v56
	v_fmac_f32_e32 v6, 0xbf3504f3, v48
	v_fmac_f32_e32 v26, 0xbec3ef15, v44
	s_delay_alu instid0(VALU_DEP_4) | instskip(NEXT) | instid1(VALU_DEP_3)
	v_fma_f32 v21, v21, 2.0, -v15
	v_fma_f32 v10, v17, 2.0, -v6
	;; [unrolled: 1-line block ×3, first 2 shown]
	s_delay_alu instid0(VALU_DEP_1) | instskip(NEXT) | instid1(VALU_DEP_1)
	v_dual_add_f32 v13, v45, v42 :: v_dual_fmamk_f32 v18, v28, 0xbf3504f3, v17
	v_fmac_f32_e32 v18, 0xbf3504f3, v19
	s_delay_alu instid0(VALU_DEP_1) | instskip(SKIP_4) | instid1(VALU_DEP_4)
	v_fma_f32 v24, v17, 2.0, -v18
	v_fmamk_f32 v17, v19, 0xbf3504f3, v9
	v_fma_f32 v19, v23, 2.0, -v59
	v_fma_f32 v23, v27, 2.0, -v42
	;; [unrolled: 1-line block ×3, first 2 shown]
	v_fmac_f32_e32 v17, 0x3f3504f3, v28
	v_fma_f32 v46, v50, 2.0, -v54
	s_delay_alu instid0(VALU_DEP_4) | instskip(SKIP_2) | instid1(VALU_DEP_4)
	v_sub_f32_e32 v28, v19, v23
	v_and_or_b32 v23, 0x700, v89, v87
	v_fma_f32 v11, v54, 2.0, -v7
	v_fmamk_f32 v25, v44, 0xbf6c835e, v46
	v_fma_f32 v27, v57, 2.0, -v60
	v_fmamk_f32 v8, v52, 0x3ec3ef15, v51
	v_sub_f32_e32 v14, v59, v60
	v_fma_f32 v44, v19, 2.0, -v28
	v_fmac_f32_e32 v25, 0x3ec3ef15, v43
	s_delay_alu instid0(VALU_DEP_4) | instskip(NEXT) | instid1(VALU_DEP_4)
	v_dual_sub_f32 v27, v47, v27 :: v_dual_fmac_f32 v8, 0xbf6c835e, v53
	v_fma_f32 v20, v59, 2.0, -v14
	v_fma_f32 v19, v45, 2.0, -v13
	s_delay_alu instid0(VALU_DEP_4) | instskip(NEXT) | instid1(VALU_DEP_4)
	v_fma_f32 v41, v46, 2.0, -v25
	v_fma_f32 v43, v47, 2.0, -v27
	v_lshlrev_b32_e32 v46, 3, v23
	v_fma_f32 v23, v9, 2.0, -v17
	v_fma_f32 v12, v51, 2.0, -v8
	;; [unrolled: 1-line block ×3, first 2 shown]
	ds_store_2addr_b64 v46, v[43:44], v[41:42] offset1:16
	ds_store_2addr_b64 v46, v[23:24], v[21:22] offset0:32 offset1:48
	ds_store_2addr_b64 v46, v[19:20], v[11:12] offset0:64 offset1:80
	;; [unrolled: 1-line block ×7, first 2 shown]
.LBB0_21:
	s_wait_alu 0xfffe
	s_or_b32 exec_lo, exec_lo, s4
	global_wb scope:SCOPE_SE
	s_wait_dscnt 0x0
	s_barrier_signal -1
	s_barrier_wait -1
	global_inv scope:SCOPE_SE
	ds_load_2addr_stride64_b64 v[1:4], v86 offset1:4
	ds_load_2addr_stride64_b64 v[5:8], v86 offset0:8 offset1:12
	ds_load_2addr_stride64_b64 v[9:12], v86 offset0:16 offset1:20
	;; [unrolled: 1-line block ×3, first 2 shown]
	s_wait_dscnt 0x2
	v_dual_mul_f32 v17, v38, v4 :: v_dual_mul_f32 v20, v40, v5
	v_dual_mul_f32 v18, v38, v3 :: v_dual_mul_f32 v19, v40, v6
	s_wait_dscnt 0x1
	v_dual_mul_f32 v21, v34, v8 :: v_dual_mul_f32 v24, v36, v9
	v_dual_mul_f32 v22, v34, v7 :: v_dual_mul_f32 v23, v36, v10
	s_delay_alu instid0(VALU_DEP_3)
	v_dual_mul_f32 v26, v30, v11 :: v_dual_fmac_f32 v19, v39, v5
	v_fmac_f32_e32 v17, v37, v3
	v_fma_f32 v3, v37, v4, -v18
	v_fma_f32 v4, v39, v6, -v20
	;; [unrolled: 1-line block ×3, first 2 shown]
	v_fmac_f32_e32 v23, v35, v9
	v_fma_f32 v6, v35, v10, -v24
	s_wait_dscnt 0x0
	v_mul_f32_e32 v10, v77, v16
	v_fma_f32 v8, v29, v12, -v26
	v_fmac_f32_e32 v21, v33, v7
	v_dual_mul_f32 v25, v30, v12 :: v_dual_sub_f32 v12, v1, v23
	v_sub_f32_e32 v6, v2, v6
	v_fmac_f32_e32 v10, v76, v15
	v_dual_sub_f32 v8, v3, v8 :: v_dual_mul_f32 v9, v32, v13
	s_delay_alu instid0(VALU_DEP_4) | instskip(NEXT) | instid1(VALU_DEP_4)
	v_fma_f32 v1, v1, 2.0, -v12
	v_fma_f32 v2, v2, 2.0, -v6
	s_delay_alu instid0(VALU_DEP_4) | instskip(NEXT) | instid1(VALU_DEP_4)
	v_sub_f32_e32 v10, v21, v10
	v_fma_f32 v3, v3, 2.0, -v8
	v_fma_f32 v9, v31, v14, -v9
	s_delay_alu instid0(VALU_DEP_1) | instskip(NEXT) | instid1(VALU_DEP_1)
	v_sub_f32_e32 v9, v4, v9
	v_fma_f32 v4, v4, 2.0, -v9
	v_fmac_f32_e32 v25, v29, v11
	v_mul_f32_e32 v11, v77, v15
	s_delay_alu instid0(VALU_DEP_1) | instskip(NEXT) | instid1(VALU_DEP_4)
	v_fma_f32 v11, v76, v16, -v11
	v_sub_f32_e32 v16, v2, v4
	v_fma_f32 v4, v21, 2.0, -v10
	v_sub_f32_e32 v10, v8, v10
	v_mul_f32_e32 v7, v32, v14
	v_sub_f32_e32 v11, v5, v11
	v_fma_f32 v18, v2, 2.0, -v16
	s_delay_alu instid0(VALU_DEP_3) | instskip(SKIP_1) | instid1(VALU_DEP_4)
	v_fmac_f32_e32 v7, v31, v13
	v_sub_f32_e32 v13, v17, v25
	v_fma_f32 v5, v5, 2.0, -v11
	s_delay_alu instid0(VALU_DEP_2) | instskip(NEXT) | instid1(VALU_DEP_2)
	v_add_f32_e32 v21, v13, v11
	v_sub_f32_e32 v11, v3, v5
	v_fma_f32 v15, v17, 2.0, -v13
	s_delay_alu instid0(VALU_DEP_2) | instskip(SKIP_1) | instid1(VALU_DEP_3)
	v_fma_f32 v2, v3, 2.0, -v11
	v_sub_f32_e32 v7, v19, v7
	v_sub_f32_e32 v20, v15, v4
	s_delay_alu instid0(VALU_DEP_3) | instskip(NEXT) | instid1(VALU_DEP_3)
	v_sub_f32_e32 v2, v18, v2
	v_fma_f32 v14, v19, 2.0, -v7
	v_sub_f32_e32 v19, v6, v7
	v_fma_f32 v7, v13, 2.0, -v21
	s_delay_alu instid0(VALU_DEP_3) | instskip(NEXT) | instid1(VALU_DEP_3)
	v_sub_f32_e32 v14, v1, v14
	v_fma_f32 v22, v6, 2.0, -v19
	v_fma_f32 v6, v8, 2.0, -v10
	s_delay_alu instid0(VALU_DEP_1) | instskip(NEXT) | instid1(VALU_DEP_4)
	v_dual_fmamk_f32 v4, v6, 0xbf3504f3, v22 :: v_dual_add_f32 v17, v12, v9
	v_fma_f32 v9, v1, 2.0, -v14
	v_fma_f32 v1, v15, 2.0, -v20
	s_delay_alu instid0(VALU_DEP_3) | instskip(NEXT) | instid1(VALU_DEP_4)
	v_fmac_f32_e32 v4, 0xbf3504f3, v7
	v_fma_f32 v12, v12, 2.0, -v17
	s_delay_alu instid0(VALU_DEP_3) | instskip(NEXT) | instid1(VALU_DEP_2)
	v_sub_f32_e32 v1, v9, v1
	v_fmamk_f32 v3, v7, 0xbf3504f3, v12
	v_fmamk_f32 v7, v21, 0x3f3504f3, v17
	s_delay_alu instid0(VALU_DEP_3) | instskip(NEXT) | instid1(VALU_DEP_3)
	v_fma_f32 v5, v9, 2.0, -v1
	v_fmac_f32_e32 v3, 0x3f3504f3, v6
	s_delay_alu instid0(VALU_DEP_3) | instskip(SKIP_1) | instid1(VALU_DEP_3)
	v_fmac_f32_e32 v7, 0x3f3504f3, v10
	v_fma_f32 v6, v18, 2.0, -v2
	v_fma_f32 v9, v12, 2.0, -v3
	v_sub_f32_e32 v12, v16, v20
	v_fmamk_f32 v8, v10, 0x3f3504f3, v19
	v_add_f32_e32 v11, v14, v11
	v_fma_f32 v10, v22, 2.0, -v4
	v_fma_f32 v15, v17, 2.0, -v7
	s_delay_alu instid0(VALU_DEP_4) | instskip(NEXT) | instid1(VALU_DEP_4)
	v_fmac_f32_e32 v8, 0xbf3504f3, v21
	v_fma_f32 v13, v14, 2.0, -v11
	v_fma_f32 v14, v16, 2.0, -v12
	s_delay_alu instid0(VALU_DEP_3)
	v_fma_f32 v16, v19, 2.0, -v8
	ds_store_2addr_stride64_b64 v86, v[5:6], v[9:10] offset1:4
	ds_store_2addr_stride64_b64 v86, v[13:14], v[15:16] offset0:8 offset1:12
	ds_store_2addr_stride64_b64 v86, v[1:2], v[3:4] offset0:16 offset1:20
	;; [unrolled: 1-line block ×3, first 2 shown]
	global_wb scope:SCOPE_SE
	s_wait_dscnt 0x0
	s_barrier_signal -1
	s_barrier_wait -1
	global_inv scope:SCOPE_SE
	s_and_b32 exec_lo, exec_lo, vcc_lo
	s_cbranch_execz .LBB0_23
; %bb.22:
	s_clause 0xf
	global_load_b64 v[33:34], v86, s[12:13]
	global_load_b64 v[35:36], v86, s[12:13] offset:1024
	global_load_b64 v[37:38], v86, s[12:13] offset:2048
	;; [unrolled: 1-line block ×15, first 2 shown]
	v_mad_co_u64_u32 v[65:66], null, s2, v73, 0
	v_mad_co_u64_u32 v[67:68], null, s0, v0, 0
	v_mad_co_u64_u32 v[87:88], null, s0, v82, 0
	v_mad_co_u64_u32 v[89:90], null, s0, v83, 0
	v_mad_co_u64_u32 v[91:92], null, s0, v84, 0
	v_mad_co_u64_u32 v[93:94], null, s0, v85, 0
	ds_load_2addr_stride64_b64 v[5:8], v86 offset0:4 offset1:6
	v_mad_co_u64_u32 v[69:70], null, s0, v78, 0
	ds_load_2addr_stride64_b64 v[9:12], v86 offset0:8 offset1:10
	ds_load_2addr_stride64_b64 v[1:4], v86 offset1:2
	v_mad_co_u64_u32 v[71:72], null, s0, v79, 0
	v_mad_co_u64_u32 v[74:75], null, s0, v80, 0
	;; [unrolled: 1-line block ×3, first 2 shown]
	ds_load_2addr_stride64_b64 v[13:16], v86 offset0:12 offset1:14
	ds_load_2addr_stride64_b64 v[17:20], v86 offset0:16 offset1:18
	;; [unrolled: 1-line block ×5, first 2 shown]
	v_mov_b32_e32 v86, v88
	v_mov_b32_e32 v88, v90
	;; [unrolled: 1-line block ×4, first 2 shown]
	v_mad_co_u64_u32 v[94:95], null, s3, v73, v[66:67]
	v_mad_co_u64_u32 v[95:96], null, s1, v0, v[68:69]
	v_mad_co_u64_u32 v[96:97], null, s1, v78, v[70:71]
	v_mad_co_u64_u32 v[72:73], null, s1, v79, v[72:73]
	v_mad_co_u64_u32 v[78:79], null, s1, v80, v[75:76]
	v_mov_b32_e32 v66, v94
	v_mov_b32_e32 v68, v95
	s_lshl_b64 s[4:5], s[0:1], 11
	s_delay_alu instid0(VALU_DEP_4) | instskip(NEXT) | instid1(VALU_DEP_4)
	v_lshlrev_b64_e32 v[71:72], 3, v[71:72]
	v_mad_co_u64_u32 v[79:80], null, s1, v81, v[77:78]
	v_mov_b32_e32 v75, v78
	v_mad_co_u64_u32 v[80:81], null, s1, v82, v[86:87]
	s_delay_alu instid0(VALU_DEP_2) | instskip(NEXT) | instid1(VALU_DEP_4)
	v_lshlrev_b64_e32 v[73:74], 3, v[74:75]
	v_mov_b32_e32 v77, v79
	v_mad_co_u64_u32 v[81:82], null, s1, v83, v[88:89]
	s_delay_alu instid0(VALU_DEP_2)
	v_lshlrev_b64_e32 v[75:76], 3, v[76:77]
	s_wait_loadcnt_dscnt 0xe05
	v_mul_f32_e32 v97, v4, v36
	s_wait_loadcnt 0xc
	v_mul_f32_e32 v99, v8, v40
	v_lshlrev_b64_e32 v[65:66], 3, v[65:66]
	s_wait_loadcnt 0xa
	v_mul_f32_e32 v101, v12, v44
	v_mov_b32_e32 v70, v96
	v_lshlrev_b64_e32 v[67:68], 3, v[67:68]
	v_fmac_f32_e32 v99, v7, v39
	v_fmac_f32_e32 v97, v3, v35
	v_add_co_u32 v0, vcc_lo, s8, v65
	v_lshlrev_b64_e32 v[69:70], 3, v[69:70]
	v_add_co_ci_u32_e32 v95, vcc_lo, s9, v66, vcc_lo
	v_mad_co_u64_u32 v[82:83], null, s1, v84, v[90:91]
	s_delay_alu instid0(VALU_DEP_4)
	v_add_co_u32 v67, vcc_lo, v0, v67
	v_mad_co_u64_u32 v[83:84], null, s1, v85, v[92:93]
	s_wait_alu 0xfffd
	v_add_co_ci_u32_e32 v68, vcc_lo, v95, v68, vcc_lo
	v_add_co_u32 v69, vcc_lo, v0, v69
	s_wait_alu 0xfffd
	v_add_co_ci_u32_e32 v70, vcc_lo, v95, v70, vcc_lo
	v_add_co_u32 v71, vcc_lo, v0, v71
	s_wait_alu 0xfffd
	v_add_co_ci_u32_e32 v72, vcc_lo, v95, v72, vcc_lo
	s_wait_loadcnt_dscnt 0x402
	v_dual_mov_b32 v94, v83 :: v_dual_mul_f32 v107, v24, v56
	s_wait_alu 0xfffe
	v_add_co_u32 v83, vcc_lo, v67, s4
	s_wait_alu 0xfffd
	v_add_co_ci_u32_e32 v84, vcc_lo, s5, v68, vcc_lo
	v_add_co_u32 v73, vcc_lo, v0, v73
	v_dual_mov_b32 v88, v80 :: v_dual_fmac_f32 v101, v11, v43
	s_wait_alu 0xfffd
	v_add_co_ci_u32_e32 v74, vcc_lo, v95, v74, vcc_lo
	v_add_co_u32 v85, vcc_lo, v83, s4
	s_wait_alu 0xfffd
	v_add_co_ci_u32_e32 v86, vcc_lo, s5, v84, vcc_lo
	v_lshlrev_b64_e32 v[77:78], 3, v[87:88]
	v_add_co_u32 v75, vcc_lo, v0, v75
	v_dual_mov_b32 v90, v81 :: v_dual_mul_f32 v103, v16, v48
	s_wait_alu 0xfffd
	v_add_co_ci_u32_e32 v76, vcc_lo, v95, v76, vcc_lo
	v_add_co_u32 v87, vcc_lo, v85, s4
	s_wait_alu 0xfffd
	v_add_co_ci_u32_e32 v88, vcc_lo, s5, v86, vcc_lo
	v_lshlrev_b64_e32 v[79:80], 3, v[89:90]
	v_add_co_u32 v77, vcc_lo, v0, v77
	v_dual_mov_b32 v92, v82 :: v_dual_mul_f32 v105, v20, v52
	s_wait_alu 0xfffd
	v_add_co_ci_u32_e32 v78, vcc_lo, v95, v78, vcc_lo
	v_add_co_u32 v89, vcc_lo, v87, s4
	s_wait_alu 0xfffd
	v_add_co_ci_u32_e32 v90, vcc_lo, s5, v88, vcc_lo
	v_lshlrev_b64_e32 v[81:82], 3, v[91:92]
	v_add_co_u32 v79, vcc_lo, v0, v79
	s_wait_alu 0xfffd
	v_add_co_ci_u32_e32 v80, vcc_lo, v95, v80, vcc_lo
	v_add_co_u32 v91, vcc_lo, v89, s4
	s_wait_alu 0xfffd
	v_add_co_ci_u32_e32 v92, vcc_lo, s5, v90, vcc_lo
	v_lshlrev_b64_e32 v[65:66], 3, v[93:94]
	v_add_co_u32 v81, vcc_lo, v0, v81
	s_wait_alu 0xfffd
	v_add_co_ci_u32_e32 v82, vcc_lo, v95, v82, vcc_lo
	v_add_co_u32 v93, vcc_lo, v91, s4
	s_wait_alu 0xfffd
	v_add_co_ci_u32_e32 v94, vcc_lo, s5, v92, vcc_lo
	v_add_co_u32 v65, vcc_lo, v0, v65
	s_wait_loadcnt_dscnt 0x201
	v_dual_mul_f32 v0, v2, v34 :: v_dual_mul_f32 v109, v28, v60
	s_wait_loadcnt_dscnt 0x0
	v_dual_mul_f32 v34, v1, v34 :: v_dual_mul_f32 v111, v32, v64
	v_dual_mul_f32 v98, v6, v38 :: v_dual_fmac_f32 v103, v15, v47
	s_delay_alu instid0(VALU_DEP_3) | instskip(NEXT) | instid1(VALU_DEP_3)
	v_fmac_f32_e32 v0, v1, v33
	v_fma_f32 v1, v33, v2, -v34
	v_mul_f32_e32 v36, v3, v36
	v_dual_mul_f32 v38, v5, v38 :: v_dual_fmac_f32 v105, v19, v51
	v_dual_mul_f32 v100, v10, v42 :: v_dual_fmac_f32 v107, v23, v55
	;; [unrolled: 1-line block ×3, first 2 shown]
	v_mul_f32_e32 v1, 0x3a000000, v1
	v_fma_f32 v3, v35, v4, -v36
	v_mul_f32_e32 v40, v7, v40
	v_dual_mul_f32 v102, v14, v46 :: v_dual_fmac_f32 v111, v31, v63
	v_fmac_f32_e32 v98, v5, v37
	v_fma_f32 v5, v37, v6, -v38
	v_mul_f32_e32 v44, v11, v44
	v_fmac_f32_e32 v100, v9, v41
	v_fma_f32 v9, v41, v10, -v42
	v_dual_mul_f32 v48, v15, v48 :: v_dual_mul_f32 v3, 0x3a000000, v3
	v_fma_f32 v7, v39, v8, -v40
	v_mul_f32_e32 v46, v13, v46
	v_fmac_f32_e32 v102, v13, v45
	v_mul_f32_e32 v5, 0x3a000000, v5
	v_fma_f32 v11, v43, v12, -v44
	v_dual_mul_f32 v7, 0x3a000000, v7 :: v_dual_mul_f32 v104, v18, v50
	v_fma_f32 v13, v45, v14, -v46
	v_dual_mul_f32 v50, v17, v50 :: v_dual_mul_f32 v9, 0x3a000000, v9
	;; [unrolled: 2-line block ×3, first 2 shown]
	v_fmac_f32_e32 v104, v17, v49
	v_mul_f32_e32 v13, 0x3a000000, v13
	s_delay_alu instid0(VALU_DEP_4) | instskip(SKIP_4) | instid1(VALU_DEP_4)
	v_mul_f32_e32 v15, 0x3a000000, v15
	v_fma_f32 v17, v49, v18, -v50
	v_mul_f32_e32 v106, v22, v54
	v_fma_f32 v19, v51, v20, -v52
	v_mul_f32_e32 v54, v21, v54
	v_dual_mul_f32 v64, v31, v64 :: v_dual_mul_f32 v17, 0x3a000000, v17
	s_delay_alu instid0(VALU_DEP_3) | instskip(NEXT) | instid1(VALU_DEP_3)
	v_dual_fmac_f32 v106, v21, v53 :: v_dual_mul_f32 v19, 0x3a000000, v19
	v_fma_f32 v21, v53, v22, -v54
	v_mul_f32_e32 v56, v23, v56
	v_mul_f32_e32 v60, v27, v60
	;; [unrolled: 1-line block ×3, first 2 shown]
	v_fma_f32 v31, v63, v32, -v64
	v_dual_mul_f32 v62, v29, v62 :: v_dual_mul_f32 v21, 0x3a000000, v21
	v_fma_f32 v23, v55, v24, -v56
	v_mul_f32_e32 v108, v26, v58
	v_mul_f32_e32 v58, v25, v58
	v_fma_f32 v27, v59, v28, -v60
	v_fmac_f32_e32 v110, v29, v61
	v_dual_mul_f32 v0, 0x3a000000, v0 :: v_dual_mul_f32 v23, 0x3a000000, v23
	v_fmac_f32_e32 v108, v25, v57
	v_fma_f32 v25, v57, v26, -v58
	v_mul_f32_e32 v31, 0x3a000000, v31
	v_fma_f32 v29, v61, v30, -v62
	v_mul_f32_e32 v2, 0x3a000000, v97
	s_wait_alu 0xfffd
	v_add_co_ci_u32_e32 v66, vcc_lo, v95, v66, vcc_lo
	v_dual_mul_f32 v25, 0x3a000000, v25 :: v_dual_mul_f32 v4, 0x3a000000, v98
	v_add_co_u32 v95, vcc_lo, v93, s4
	v_mul_f32_e32 v6, 0x3a000000, v99
	v_mul_f32_e32 v8, 0x3a000000, v100
	s_wait_alu 0xfffd
	v_add_co_ci_u32_e32 v96, vcc_lo, s5, v94, vcc_lo
	v_mul_f32_e32 v10, 0x3a000000, v101
	v_mul_f32_e32 v12, 0x3a000000, v102
	;; [unrolled: 1-line block ×8, first 2 shown]
	v_dual_mul_f32 v26, 0x3a000000, v109 :: v_dual_mul_f32 v27, 0x3a000000, v27
	v_dual_mul_f32 v28, 0x3a000000, v110 :: v_dual_mul_f32 v29, 0x3a000000, v29
	v_mul_f32_e32 v30, 0x3a000000, v111
	s_clause 0x9
	global_store_b64 v[67:68], v[0:1], off
	global_store_b64 v[69:70], v[2:3], off
	;; [unrolled: 1-line block ×16, first 2 shown]
.LBB0_23:
	s_nop 0
	s_sendmsg sendmsg(MSG_DEALLOC_VGPRS)
	s_endpgm
	.section	.rodata,"a",@progbits
	.p2align	6, 0x0
	.amdhsa_kernel bluestein_single_fwd_len2048_dim1_sp_op_CI_CI
		.amdhsa_group_segment_fixed_size 16384
		.amdhsa_private_segment_fixed_size 0
		.amdhsa_kernarg_size 104
		.amdhsa_user_sgpr_count 2
		.amdhsa_user_sgpr_dispatch_ptr 0
		.amdhsa_user_sgpr_queue_ptr 0
		.amdhsa_user_sgpr_kernarg_segment_ptr 1
		.amdhsa_user_sgpr_dispatch_id 0
		.amdhsa_user_sgpr_private_segment_size 0
		.amdhsa_wavefront_size32 1
		.amdhsa_uses_dynamic_stack 0
		.amdhsa_enable_private_segment 0
		.amdhsa_system_sgpr_workgroup_id_x 1
		.amdhsa_system_sgpr_workgroup_id_y 0
		.amdhsa_system_sgpr_workgroup_id_z 0
		.amdhsa_system_sgpr_workgroup_info 0
		.amdhsa_system_vgpr_workitem_id 0
		.amdhsa_next_free_vgpr 171
		.amdhsa_next_free_sgpr 16
		.amdhsa_reserve_vcc 1
		.amdhsa_float_round_mode_32 0
		.amdhsa_float_round_mode_16_64 0
		.amdhsa_float_denorm_mode_32 3
		.amdhsa_float_denorm_mode_16_64 3
		.amdhsa_fp16_overflow 0
		.amdhsa_workgroup_processor_mode 1
		.amdhsa_memory_ordered 1
		.amdhsa_forward_progress 0
		.amdhsa_round_robin_scheduling 0
		.amdhsa_exception_fp_ieee_invalid_op 0
		.amdhsa_exception_fp_denorm_src 0
		.amdhsa_exception_fp_ieee_div_zero 0
		.amdhsa_exception_fp_ieee_overflow 0
		.amdhsa_exception_fp_ieee_underflow 0
		.amdhsa_exception_fp_ieee_inexact 0
		.amdhsa_exception_int_div_zero 0
	.end_amdhsa_kernel
	.text
.Lfunc_end0:
	.size	bluestein_single_fwd_len2048_dim1_sp_op_CI_CI, .Lfunc_end0-bluestein_single_fwd_len2048_dim1_sp_op_CI_CI
                                        ; -- End function
	.section	.AMDGPU.csdata,"",@progbits
; Kernel info:
; codeLenInByte = 11492
; NumSgprs: 18
; NumVgprs: 171
; ScratchSize: 0
; MemoryBound: 0
; FloatMode: 240
; IeeeMode: 1
; LDSByteSize: 16384 bytes/workgroup (compile time only)
; SGPRBlocks: 2
; VGPRBlocks: 21
; NumSGPRsForWavesPerEU: 18
; NumVGPRsForWavesPerEU: 171
; Occupancy: 8
; WaveLimiterHint : 1
; COMPUTE_PGM_RSRC2:SCRATCH_EN: 0
; COMPUTE_PGM_RSRC2:USER_SGPR: 2
; COMPUTE_PGM_RSRC2:TRAP_HANDLER: 0
; COMPUTE_PGM_RSRC2:TGID_X_EN: 1
; COMPUTE_PGM_RSRC2:TGID_Y_EN: 0
; COMPUTE_PGM_RSRC2:TGID_Z_EN: 0
; COMPUTE_PGM_RSRC2:TIDIG_COMP_CNT: 0
	.text
	.p2alignl 7, 3214868480
	.fill 96, 4, 3214868480
	.type	__hip_cuid_3b9d975ec11ebe9b,@object ; @__hip_cuid_3b9d975ec11ebe9b
	.section	.bss,"aw",@nobits
	.globl	__hip_cuid_3b9d975ec11ebe9b
__hip_cuid_3b9d975ec11ebe9b:
	.byte	0                               ; 0x0
	.size	__hip_cuid_3b9d975ec11ebe9b, 1

	.ident	"AMD clang version 19.0.0git (https://github.com/RadeonOpenCompute/llvm-project roc-6.4.0 25133 c7fe45cf4b819c5991fe208aaa96edf142730f1d)"
	.section	".note.GNU-stack","",@progbits
	.addrsig
	.addrsig_sym __hip_cuid_3b9d975ec11ebe9b
	.amdgpu_metadata
---
amdhsa.kernels:
  - .args:
      - .actual_access:  read_only
        .address_space:  global
        .offset:         0
        .size:           8
        .value_kind:     global_buffer
      - .actual_access:  read_only
        .address_space:  global
        .offset:         8
        .size:           8
        .value_kind:     global_buffer
      - .actual_access:  read_only
        .address_space:  global
        .offset:         16
        .size:           8
        .value_kind:     global_buffer
      - .actual_access:  read_only
        .address_space:  global
        .offset:         24
        .size:           8
        .value_kind:     global_buffer
      - .actual_access:  read_only
        .address_space:  global
        .offset:         32
        .size:           8
        .value_kind:     global_buffer
      - .offset:         40
        .size:           8
        .value_kind:     by_value
      - .address_space:  global
        .offset:         48
        .size:           8
        .value_kind:     global_buffer
      - .address_space:  global
        .offset:         56
        .size:           8
        .value_kind:     global_buffer
      - .address_space:  global
        .offset:         64
        .size:           8
        .value_kind:     global_buffer
      - .address_space:  global
        .offset:         72
        .size:           8
        .value_kind:     global_buffer
      - .offset:         80
        .size:           4
        .value_kind:     by_value
      - .address_space:  global
        .offset:         88
        .size:           8
        .value_kind:     global_buffer
      - .address_space:  global
        .offset:         96
        .size:           8
        .value_kind:     global_buffer
    .group_segment_fixed_size: 16384
    .kernarg_segment_align: 8
    .kernarg_segment_size: 104
    .language:       OpenCL C
    .language_version:
      - 2
      - 0
    .max_flat_workgroup_size: 256
    .name:           bluestein_single_fwd_len2048_dim1_sp_op_CI_CI
    .private_segment_fixed_size: 0
    .sgpr_count:     18
    .sgpr_spill_count: 0
    .symbol:         bluestein_single_fwd_len2048_dim1_sp_op_CI_CI.kd
    .uniform_work_group_size: 1
    .uses_dynamic_stack: false
    .vgpr_count:     171
    .vgpr_spill_count: 0
    .wavefront_size: 32
    .workgroup_processor_mode: 1
amdhsa.target:   amdgcn-amd-amdhsa--gfx1201
amdhsa.version:
  - 1
  - 2
...

	.end_amdgpu_metadata
